;; amdgpu-corpus repo=ParRes/Kernels kind=compiled arch=gfx942 opt=O3
	.text
	.amdgcn_target "amdgcn-amd-amdhsa--gfx942"
	.amdhsa_code_object_version 6
	.protected	_Z5star1iPKdPd          ; -- Begin function _Z5star1iPKdPd
	.globl	_Z5star1iPKdPd
	.p2align	8
	.type	_Z5star1iPKdPd,@function
_Z5star1iPKdPd:                         ; @_Z5star1iPKdPd
; %bb.0:
	s_load_dword s5, s[0:1], 0x24
	s_load_dword s4, s[0:1], 0x0
	v_and_b32_e32 v1, 0x3ff, v0
	v_bfe_u32 v0, v0, 10, 10
	s_waitcnt lgkmcnt(0)
	s_lshr_b32 s6, s5, 16
	s_and_b32 s5, s5, 0xffff
	s_mul_i32 s2, s2, s5
	s_mul_i32 s3, s3, s6
	v_add_u32_e32 v1, s2, v1
	v_add_u32_e32 v0, s3, v0
	s_add_i32 s2, s4, -1
	v_max_i32_e32 v2, v1, v0
	v_cmp_gt_i32_e32 vcc, s2, v2
	v_min_i32_e32 v2, v0, v1
	v_cmp_lt_i32_e64 s[2:3], 0, v2
	s_and_b64 s[2:3], s[2:3], vcc
	s_and_saveexec_b64 s[6:7], s[2:3]
	s_cbranch_execz .LBB0_2
; %bb.1:
	s_load_dwordx4 s[0:3], s[0:1], 0x8
	v_mul_lo_u32 v2, v1, s4
	v_ashrrev_i32_e32 v1, 31, v0
	v_ashrrev_i32_e32 v3, 31, v2
	v_lshl_add_u64 v[6:7], v[0:1], 0, v[2:3]
	v_subrev_u32_e32 v1, s4, v2
	v_add_u32_e32 v10, v1, v0
	v_ashrrev_i32_e32 v11, 31, v10
	s_waitcnt lgkmcnt(0)
	v_lshl_add_u64 v[12:13], v[10:11], 3, s[0:1]
	v_lshl_add_u32 v10, s4, 1, v10
	v_ashrrev_i32_e32 v11, 31, v10
	v_lshl_add_u64 v[6:7], v[6:7], 3, s[0:1]
	v_lshl_add_u64 v[10:11], v[10:11], 3, s[0:1]
	global_load_dwordx2 v[8:9], v[6:7], off offset:-8
	global_load_dwordx2 v[14:15], v[10:11], off
	global_load_dwordx2 v[16:17], v[12:13], off
	global_load_dwordx2 v[18:19], v[6:7], off offset:8
	v_add_u32_e32 v0, v2, v0
	v_mov_b32_e32 v4, s2
	v_mov_b32_e32 v5, s3
	v_ashrrev_i32_e32 v1, 31, v0
	v_lshl_add_u64 v[0:1], v[0:1], 3, v[4:5]
	global_load_dwordx2 v[2:3], v[0:1], off
	s_waitcnt vmcnt(2)
	v_mul_f64 v[4:5], v[16:17], -0.5
	v_fmac_f64_e32 v[4:5], -0.5, v[8:9]
	v_fmac_f64_e32 v[4:5], 0.5, v[14:15]
	s_waitcnt vmcnt(1)
	v_fmac_f64_e32 v[4:5], 0.5, v[18:19]
	s_waitcnt vmcnt(0)
	v_add_f64 v[2:3], v[2:3], v[4:5]
	global_store_dwordx2 v[0:1], v[2:3], off
.LBB0_2:
	s_endpgm
	.section	.rodata,"a",@progbits
	.p2align	6, 0x0
	.amdhsa_kernel _Z5star1iPKdPd
		.amdhsa_group_segment_fixed_size 0
		.amdhsa_private_segment_fixed_size 0
		.amdhsa_kernarg_size 280
		.amdhsa_user_sgpr_count 2
		.amdhsa_user_sgpr_dispatch_ptr 0
		.amdhsa_user_sgpr_queue_ptr 0
		.amdhsa_user_sgpr_kernarg_segment_ptr 1
		.amdhsa_user_sgpr_dispatch_id 0
		.amdhsa_user_sgpr_kernarg_preload_length 0
		.amdhsa_user_sgpr_kernarg_preload_offset 0
		.amdhsa_user_sgpr_private_segment_size 0
		.amdhsa_uses_dynamic_stack 0
		.amdhsa_enable_private_segment 0
		.amdhsa_system_sgpr_workgroup_id_x 1
		.amdhsa_system_sgpr_workgroup_id_y 1
		.amdhsa_system_sgpr_workgroup_id_z 0
		.amdhsa_system_sgpr_workgroup_info 0
		.amdhsa_system_vgpr_workitem_id 1
		.amdhsa_next_free_vgpr 20
		.amdhsa_next_free_sgpr 8
		.amdhsa_accum_offset 20
		.amdhsa_reserve_vcc 1
		.amdhsa_float_round_mode_32 0
		.amdhsa_float_round_mode_16_64 0
		.amdhsa_float_denorm_mode_32 3
		.amdhsa_float_denorm_mode_16_64 3
		.amdhsa_dx10_clamp 1
		.amdhsa_ieee_mode 1
		.amdhsa_fp16_overflow 0
		.amdhsa_tg_split 0
		.amdhsa_exception_fp_ieee_invalid_op 0
		.amdhsa_exception_fp_denorm_src 0
		.amdhsa_exception_fp_ieee_div_zero 0
		.amdhsa_exception_fp_ieee_overflow 0
		.amdhsa_exception_fp_ieee_underflow 0
		.amdhsa_exception_fp_ieee_inexact 0
		.amdhsa_exception_int_div_zero 0
	.end_amdhsa_kernel
	.text
.Lfunc_end0:
	.size	_Z5star1iPKdPd, .Lfunc_end0-_Z5star1iPKdPd
                                        ; -- End function
	.section	.AMDGPU.csdata,"",@progbits
; Kernel info:
; codeLenInByte = 300
; NumSgprs: 14
; NumVgprs: 20
; NumAgprs: 0
; TotalNumVgprs: 20
; ScratchSize: 0
; MemoryBound: 0
; FloatMode: 240
; IeeeMode: 1
; LDSByteSize: 0 bytes/workgroup (compile time only)
; SGPRBlocks: 1
; VGPRBlocks: 2
; NumSGPRsForWavesPerEU: 14
; NumVGPRsForWavesPerEU: 20
; AccumOffset: 20
; Occupancy: 8
; WaveLimiterHint : 0
; COMPUTE_PGM_RSRC2:SCRATCH_EN: 0
; COMPUTE_PGM_RSRC2:USER_SGPR: 2
; COMPUTE_PGM_RSRC2:TRAP_HANDLER: 0
; COMPUTE_PGM_RSRC2:TGID_X_EN: 1
; COMPUTE_PGM_RSRC2:TGID_Y_EN: 1
; COMPUTE_PGM_RSRC2:TGID_Z_EN: 0
; COMPUTE_PGM_RSRC2:TIDIG_COMP_CNT: 1
; COMPUTE_PGM_RSRC3_GFX90A:ACCUM_OFFSET: 4
; COMPUTE_PGM_RSRC3_GFX90A:TG_SPLIT: 0
	.text
	.protected	_Z5star2iPKdPd          ; -- Begin function _Z5star2iPKdPd
	.globl	_Z5star2iPKdPd
	.p2align	8
	.type	_Z5star2iPKdPd,@function
_Z5star2iPKdPd:                         ; @_Z5star2iPKdPd
; %bb.0:
	s_load_dword s5, s[0:1], 0x24
	s_load_dword s4, s[0:1], 0x0
	v_and_b32_e32 v1, 0x3ff, v0
	v_bfe_u32 v0, v0, 10, 10
	s_waitcnt lgkmcnt(0)
	s_lshr_b32 s6, s5, 16
	s_and_b32 s5, s5, 0xffff
	s_mul_i32 s2, s2, s5
	s_mul_i32 s3, s3, s6
	v_add_u32_e32 v1, s2, v1
	v_add_u32_e32 v0, s3, v0
	s_add_i32 s2, s4, -2
	v_max_i32_e32 v2, v1, v0
	v_cmp_gt_i32_e32 vcc, s2, v2
	v_min_i32_e32 v2, v0, v1
	v_cmp_lt_i32_e64 s[2:3], 1, v2
	s_and_b64 s[2:3], s[2:3], vcc
	s_and_saveexec_b64 s[6:7], s[2:3]
	s_cbranch_execz .LBB1_2
; %bb.1:
	s_load_dwordx4 s[0:3], s[0:1], 0x8
	v_mul_lo_u32 v10, v1, s4
	v_ashrrev_i32_e32 v1, 31, v0
	v_ashrrev_i32_e32 v11, 31, v10
	v_lshl_add_u64 v[2:3], v[0:1], 0, v[10:11]
	s_waitcnt lgkmcnt(0)
	v_mov_b32_e32 v12, s2
	s_lshl_b32 s2, s4, 1
	v_subrev_u32_e32 v1, s2, v10
	v_add_u32_e32 v6, v1, v0
	v_lshl_add_u64 v[14:15], v[2:3], 3, s[0:1]
	v_ashrrev_i32_e32 v7, 31, v6
	global_load_dwordx4 v[2:5], v[14:15], off offset:-16
	v_lshl_add_u64 v[16:17], v[6:7], 3, s[0:1]
	v_add_u32_e32 v6, s4, v6
	v_ashrrev_i32_e32 v7, 31, v6
	v_lshl_add_u64 v[18:19], v[6:7], 3, s[0:1]
	v_add_u32_e32 v6, s2, v6
	v_ashrrev_i32_e32 v7, 31, v6
	;; [unrolled: 3-line block ×3, first 2 shown]
	v_add_u32_e32 v0, v10, v0
	v_mov_b32_e32 v13, s3
	v_lshl_add_u64 v[22:23], v[6:7], 3, s[0:1]
	global_load_dwordx2 v[24:25], v[16:17], off
	global_load_dwordx2 v[26:27], v[18:19], off
	;; [unrolled: 1-line block ×4, first 2 shown]
	global_load_dwordx4 v[6:9], v[14:15], off offset:8
	v_ashrrev_i32_e32 v1, 31, v0
	v_lshl_add_u64 v[0:1], v[0:1], 3, v[12:13]
	global_load_dwordx2 v[10:11], v[0:1], off
	s_waitcnt vmcnt(6)
	v_ldexp_f64 v[4:5], -v[4:5], -2
	v_fmac_f64_e32 v[4:5], 0xbfc00000, v[2:3]
	s_waitcnt vmcnt(5)
	v_fmac_f64_e32 v[4:5], 0xbfc00000, v[24:25]
	s_waitcnt vmcnt(4)
	;; [unrolled: 2-line block ×5, first 2 shown]
	v_fmac_f64_e32 v[4:5], 0x3fd00000, v[6:7]
	v_fmac_f64_e32 v[4:5], 0x3fc00000, v[8:9]
	s_waitcnt vmcnt(0)
	v_add_f64 v[2:3], v[10:11], v[4:5]
	global_store_dwordx2 v[0:1], v[2:3], off
.LBB1_2:
	s_endpgm
	.section	.rodata,"a",@progbits
	.p2align	6, 0x0
	.amdhsa_kernel _Z5star2iPKdPd
		.amdhsa_group_segment_fixed_size 0
		.amdhsa_private_segment_fixed_size 0
		.amdhsa_kernarg_size 280
		.amdhsa_user_sgpr_count 2
		.amdhsa_user_sgpr_dispatch_ptr 0
		.amdhsa_user_sgpr_queue_ptr 0
		.amdhsa_user_sgpr_kernarg_segment_ptr 1
		.amdhsa_user_sgpr_dispatch_id 0
		.amdhsa_user_sgpr_kernarg_preload_length 0
		.amdhsa_user_sgpr_kernarg_preload_offset 0
		.amdhsa_user_sgpr_private_segment_size 0
		.amdhsa_uses_dynamic_stack 0
		.amdhsa_enable_private_segment 0
		.amdhsa_system_sgpr_workgroup_id_x 1
		.amdhsa_system_sgpr_workgroup_id_y 1
		.amdhsa_system_sgpr_workgroup_id_z 0
		.amdhsa_system_sgpr_workgroup_info 0
		.amdhsa_system_vgpr_workitem_id 1
		.amdhsa_next_free_vgpr 32
		.amdhsa_next_free_sgpr 8
		.amdhsa_accum_offset 32
		.amdhsa_reserve_vcc 1
		.amdhsa_float_round_mode_32 0
		.amdhsa_float_round_mode_16_64 0
		.amdhsa_float_denorm_mode_32 3
		.amdhsa_float_denorm_mode_16_64 3
		.amdhsa_dx10_clamp 1
		.amdhsa_ieee_mode 1
		.amdhsa_fp16_overflow 0
		.amdhsa_tg_split 0
		.amdhsa_exception_fp_ieee_invalid_op 0
		.amdhsa_exception_fp_denorm_src 0
		.amdhsa_exception_fp_ieee_div_zero 0
		.amdhsa_exception_fp_ieee_overflow 0
		.amdhsa_exception_fp_ieee_underflow 0
		.amdhsa_exception_fp_ieee_inexact 0
		.amdhsa_exception_int_div_zero 0
	.end_amdhsa_kernel
	.text
.Lfunc_end1:
	.size	_Z5star2iPKdPd, .Lfunc_end1-_Z5star2iPKdPd
                                        ; -- End function
	.section	.AMDGPU.csdata,"",@progbits
; Kernel info:
; codeLenInByte = 408
; NumSgprs: 14
; NumVgprs: 32
; NumAgprs: 0
; TotalNumVgprs: 32
; ScratchSize: 0
; MemoryBound: 0
; FloatMode: 240
; IeeeMode: 1
; LDSByteSize: 0 bytes/workgroup (compile time only)
; SGPRBlocks: 1
; VGPRBlocks: 3
; NumSGPRsForWavesPerEU: 14
; NumVGPRsForWavesPerEU: 32
; AccumOffset: 32
; Occupancy: 8
; WaveLimiterHint : 0
; COMPUTE_PGM_RSRC2:SCRATCH_EN: 0
; COMPUTE_PGM_RSRC2:USER_SGPR: 2
; COMPUTE_PGM_RSRC2:TRAP_HANDLER: 0
; COMPUTE_PGM_RSRC2:TGID_X_EN: 1
; COMPUTE_PGM_RSRC2:TGID_Y_EN: 1
; COMPUTE_PGM_RSRC2:TGID_Z_EN: 0
; COMPUTE_PGM_RSRC2:TIDIG_COMP_CNT: 1
; COMPUTE_PGM_RSRC3_GFX90A:ACCUM_OFFSET: 7
; COMPUTE_PGM_RSRC3_GFX90A:TG_SPLIT: 0
	.text
	.protected	_Z5star3iPKdPd          ; -- Begin function _Z5star3iPKdPd
	.globl	_Z5star3iPKdPd
	.p2align	8
	.type	_Z5star3iPKdPd,@function
_Z5star3iPKdPd:                         ; @_Z5star3iPKdPd
; %bb.0:
	s_load_dword s5, s[0:1], 0x24
	s_load_dword s4, s[0:1], 0x0
	v_and_b32_e32 v1, 0x3ff, v0
	v_bfe_u32 v0, v0, 10, 10
	s_waitcnt lgkmcnt(0)
	s_lshr_b32 s6, s5, 16
	s_and_b32 s5, s5, 0xffff
	s_mul_i32 s2, s2, s5
	s_mul_i32 s3, s3, s6
	v_add_u32_e32 v1, s2, v1
	v_add_u32_e32 v6, s3, v0
	s_add_i32 s2, s4, -3
	v_max_i32_e32 v0, v1, v6
	v_cmp_gt_i32_e32 vcc, s2, v0
	v_min_i32_e32 v0, v6, v1
	v_cmp_lt_i32_e64 s[2:3], 2, v0
	s_and_b64 s[2:3], s[2:3], vcc
	s_and_saveexec_b64 s[6:7], s[2:3]
	s_cbranch_execz .LBB2_2
; %bb.1:
	s_load_dwordx4 s[0:3], s[0:1], 0x8
	v_mul_lo_u32 v8, v1, s4
	v_ashrrev_i32_e32 v7, 31, v6
	v_ashrrev_i32_e32 v9, 31, v8
	v_add_u32_e32 v14, v8, v6
	s_waitcnt lgkmcnt(0)
	v_mov_b32_e32 v10, s2
	v_mov_b32_e32 v11, s3
	v_lshl_add_u64 v[0:1], v[6:7], 0, v[8:9]
	v_mad_u64_u32 v[6:7], s[2:3], s4, -3, v[14:15]
	v_ashrrev_i32_e32 v7, 31, v6
	v_lshl_add_u64 v[12:13], v[0:1], 3, s[0:1]
	v_lshl_add_u64 v[8:9], v[6:7], 3, s[0:1]
	v_add_u32_e32 v6, s4, v6
	global_load_dwordx2 v[4:5], v[12:13], off offset:-8
	global_load_dwordx4 v[0:3], v[12:13], off offset:-24
	v_ashrrev_i32_e32 v7, 31, v6
	v_lshl_add_u64 v[16:17], v[6:7], 3, s[0:1]
	v_add_u32_e32 v6, s4, v6
	v_ashrrev_i32_e32 v7, 31, v6
	v_lshl_add_u64 v[18:19], v[6:7], 3, s[0:1]
	v_lshl_add_u32 v6, s4, 1, v6
	v_ashrrev_i32_e32 v7, 31, v6
	v_lshl_add_u64 v[20:21], v[6:7], 3, s[0:1]
	v_add_u32_e32 v6, s4, v6
	global_load_dwordx2 v[22:23], v[8:9], off
	global_load_dwordx2 v[24:25], v[16:17], off
	;; [unrolled: 1-line block ×4, first 2 shown]
	v_ashrrev_i32_e32 v7, 31, v6
	v_lshl_add_u64 v[16:17], v[6:7], 3, s[0:1]
	v_add_u32_e32 v6, s4, v6
	v_ashrrev_i32_e32 v7, 31, v6
	v_lshl_add_u64 v[18:19], v[6:7], 3, s[0:1]
	global_load_dwordx2 v[20:21], v[16:17], off
	global_load_dwordx2 v[30:31], v[18:19], off
	global_load_dwordx2 v[32:33], v[12:13], off offset:24
	global_load_dwordx4 v[6:9], v[12:13], off offset:8
	v_ashrrev_i32_e32 v15, 31, v14
	v_lshl_add_u64 v[10:11], v[14:15], 3, v[10:11]
	global_load_dwordx2 v[12:13], v[10:11], off
	s_mov_b32 s1, 0xbfb55555
	s_mov_b32 s0, 0x55555555
	;; [unrolled: 1-line block ×8, first 2 shown]
	s_waitcnt vmcnt(9)
	v_mul_f64 v[2:3], v[2:3], s[0:1]
	v_fmac_f64_e32 v[2:3], s[2:3], v[0:1]
	v_fmac_f64_e32 v[2:3], s[4:5], v[4:5]
	s_waitcnt vmcnt(8)
	v_fmac_f64_e32 v[2:3], s[2:3], v[22:23]
	s_waitcnt vmcnt(7)
	v_fmac_f64_e32 v[2:3], s[0:1], v[24:25]
	s_mov_b32 s1, 0x3fc55555
	s_waitcnt vmcnt(6)
	v_fmac_f64_e32 v[2:3], s[4:5], v[26:27]
	s_waitcnt vmcnt(5)
	v_fmac_f64_e32 v[2:3], s[0:1], v[28:29]
	s_mov_b32 s3, 0x3fac71c7
	s_waitcnt vmcnt(4)
	v_fmac_f64_e32 v[2:3], s[6:7], v[20:21]
	s_waitcnt vmcnt(3)
	v_fmac_f64_e32 v[2:3], s[2:3], v[30:31]
	;; [unrolled: 2-line block ×3, first 2 shown]
	v_fmac_f64_e32 v[2:3], s[6:7], v[8:9]
	v_fmac_f64_e32 v[2:3], s[2:3], v[32:33]
	s_waitcnt vmcnt(0)
	v_add_f64 v[0:1], v[12:13], v[2:3]
	global_store_dwordx2 v[10:11], v[0:1], off
.LBB2_2:
	s_endpgm
	.section	.rodata,"a",@progbits
	.p2align	6, 0x0
	.amdhsa_kernel _Z5star3iPKdPd
		.amdhsa_group_segment_fixed_size 0
		.amdhsa_private_segment_fixed_size 0
		.amdhsa_kernarg_size 280
		.amdhsa_user_sgpr_count 2
		.amdhsa_user_sgpr_dispatch_ptr 0
		.amdhsa_user_sgpr_queue_ptr 0
		.amdhsa_user_sgpr_kernarg_segment_ptr 1
		.amdhsa_user_sgpr_dispatch_id 0
		.amdhsa_user_sgpr_kernarg_preload_length 0
		.amdhsa_user_sgpr_kernarg_preload_offset 0
		.amdhsa_user_sgpr_private_segment_size 0
		.amdhsa_uses_dynamic_stack 0
		.amdhsa_enable_private_segment 0
		.amdhsa_system_sgpr_workgroup_id_x 1
		.amdhsa_system_sgpr_workgroup_id_y 1
		.amdhsa_system_sgpr_workgroup_id_z 0
		.amdhsa_system_sgpr_workgroup_info 0
		.amdhsa_system_vgpr_workitem_id 1
		.amdhsa_next_free_vgpr 34
		.amdhsa_next_free_sgpr 8
		.amdhsa_accum_offset 36
		.amdhsa_reserve_vcc 1
		.amdhsa_float_round_mode_32 0
		.amdhsa_float_round_mode_16_64 0
		.amdhsa_float_denorm_mode_32 3
		.amdhsa_float_denorm_mode_16_64 3
		.amdhsa_dx10_clamp 1
		.amdhsa_ieee_mode 1
		.amdhsa_fp16_overflow 0
		.amdhsa_tg_split 0
		.amdhsa_exception_fp_ieee_invalid_op 0
		.amdhsa_exception_fp_denorm_src 0
		.amdhsa_exception_fp_ieee_div_zero 0
		.amdhsa_exception_fp_ieee_overflow 0
		.amdhsa_exception_fp_ieee_underflow 0
		.amdhsa_exception_fp_ieee_inexact 0
		.amdhsa_exception_int_div_zero 0
	.end_amdhsa_kernel
	.text
.Lfunc_end2:
	.size	_Z5star3iPKdPd, .Lfunc_end2-_Z5star3iPKdPd
                                        ; -- End function
	.section	.AMDGPU.csdata,"",@progbits
; Kernel info:
; codeLenInByte = 540
; NumSgprs: 14
; NumVgprs: 34
; NumAgprs: 0
; TotalNumVgprs: 34
; ScratchSize: 0
; MemoryBound: 0
; FloatMode: 240
; IeeeMode: 1
; LDSByteSize: 0 bytes/workgroup (compile time only)
; SGPRBlocks: 1
; VGPRBlocks: 4
; NumSGPRsForWavesPerEU: 14
; NumVGPRsForWavesPerEU: 34
; AccumOffset: 36
; Occupancy: 8
; WaveLimiterHint : 0
; COMPUTE_PGM_RSRC2:SCRATCH_EN: 0
; COMPUTE_PGM_RSRC2:USER_SGPR: 2
; COMPUTE_PGM_RSRC2:TRAP_HANDLER: 0
; COMPUTE_PGM_RSRC2:TGID_X_EN: 1
; COMPUTE_PGM_RSRC2:TGID_Y_EN: 1
; COMPUTE_PGM_RSRC2:TGID_Z_EN: 0
; COMPUTE_PGM_RSRC2:TIDIG_COMP_CNT: 1
; COMPUTE_PGM_RSRC3_GFX90A:ACCUM_OFFSET: 8
; COMPUTE_PGM_RSRC3_GFX90A:TG_SPLIT: 0
	.text
	.protected	_Z5star4iPKdPd          ; -- Begin function _Z5star4iPKdPd
	.globl	_Z5star4iPKdPd
	.p2align	8
	.type	_Z5star4iPKdPd,@function
_Z5star4iPKdPd:                         ; @_Z5star4iPKdPd
; %bb.0:
	s_load_dword s5, s[0:1], 0x24
	s_load_dword s4, s[0:1], 0x0
	v_and_b32_e32 v1, 0x3ff, v0
	v_bfe_u32 v0, v0, 10, 10
	s_waitcnt lgkmcnt(0)
	s_lshr_b32 s6, s5, 16
	s_and_b32 s5, s5, 0xffff
	s_mul_i32 s2, s2, s5
	s_mul_i32 s3, s3, s6
	v_add_u32_e32 v1, s2, v1
	v_add_u32_e32 v8, s3, v0
	s_add_i32 s2, s4, -4
	v_max_i32_e32 v0, v1, v8
	v_cmp_gt_i32_e32 vcc, s2, v0
	v_min_i32_e32 v0, v8, v1
	v_cmp_lt_i32_e64 s[2:3], 3, v0
	s_and_b64 s[2:3], s[2:3], vcc
	s_and_saveexec_b64 s[6:7], s[2:3]
	s_cbranch_execz .LBB3_2
; %bb.1:
	s_load_dwordx4 s[0:3], s[0:1], 0x8
	v_mul_lo_u32 v10, v1, s4
	v_ashrrev_i32_e32 v9, 31, v8
	v_ashrrev_i32_e32 v11, 31, v10
	v_lshl_add_u64 v[0:1], v[8:9], 0, v[10:11]
	s_waitcnt lgkmcnt(0)
	v_mov_b32_e32 v12, s2
	s_lshl_b32 s2, s4, 2
	v_subrev_u32_e32 v9, s2, v10
	v_add_u32_e32 v14, v9, v8
	v_ashrrev_i32_e32 v15, 31, v14
	v_lshl_add_u64 v[16:17], v[14:15], 3, s[0:1]
	v_add_u32_e32 v14, s4, v14
	v_lshl_add_u64 v[22:23], v[0:1], 3, s[0:1]
	v_ashrrev_i32_e32 v15, 31, v14
	global_load_dwordx4 v[0:3], v[22:23], off offset:-16
	global_load_dwordx4 v[4:7], v[22:23], off offset:-32
	v_lshl_add_u64 v[18:19], v[14:15], 3, s[0:1]
	v_add_u32_e32 v14, s4, v14
	v_ashrrev_i32_e32 v15, 31, v14
	v_lshl_add_u64 v[20:21], v[14:15], 3, s[0:1]
	v_add_u32_e32 v14, s4, v14
	v_ashrrev_i32_e32 v15, 31, v14
	v_lshl_add_u64 v[24:25], v[14:15], 3, s[0:1]
	v_lshl_add_u32 v14, s4, 1, v14
	v_ashrrev_i32_e32 v15, 31, v14
	global_load_dwordx2 v[26:27], v[16:17], off
	global_load_dwordx2 v[28:29], v[18:19], off
	;; [unrolled: 1-line block ×4, first 2 shown]
	v_lshl_add_u64 v[24:25], v[14:15], 3, s[0:1]
	v_add_u32_e32 v14, s4, v14
	v_ashrrev_i32_e32 v15, 31, v14
	v_lshl_add_u64 v[34:35], v[14:15], 3, s[0:1]
	v_add_u32_e32 v14, s4, v14
	v_ashrrev_i32_e32 v15, 31, v14
	;; [unrolled: 3-line block ×3, first 2 shown]
	v_lshl_add_u64 v[38:39], v[14:15], 3, s[0:1]
	global_load_dwordx2 v[40:41], v[24:25], off
	global_load_dwordx2 v[42:43], v[34:35], off
	;; [unrolled: 1-line block ×4, first 2 shown]
	global_load_dwordx4 v[14:17], v[22:23], off offset:24
	global_load_dwordx4 v[18:21], v[22:23], off offset:8
	v_add_u32_e32 v8, v10, v8
	v_mov_b32_e32 v13, s3
	v_ashrrev_i32_e32 v9, 31, v8
	v_lshl_add_u64 v[8:9], v[8:9], 3, v[12:13]
	global_load_dwordx2 v[10:11], v[8:9], off
	s_mov_b32 s1, 0xbfa55555
	s_mov_b32 s0, 0x55555555
	s_waitcnt vmcnt(11)
	v_mul_f64 v[6:7], v[6:7], s[0:1]
	v_fmac_f64_e32 v[6:7], 0xbfa00000, v[4:5]
	v_fmac_f64_e32 v[6:7], 0xbfb00000, v[0:1]
	;; [unrolled: 1-line block ×3, first 2 shown]
	s_waitcnt vmcnt(10)
	v_fmac_f64_e32 v[6:7], 0xbfa00000, v[26:27]
	s_waitcnt vmcnt(9)
	v_fmac_f64_e32 v[6:7], s[0:1], v[28:29]
	;; [unrolled: 2-line block ×4, first 2 shown]
	s_mov_b32 s1, 0x3fa55555
	s_waitcnt vmcnt(6)
	v_fmac_f64_e32 v[6:7], 0x3fc00000, v[40:41]
	s_waitcnt vmcnt(5)
	v_fmac_f64_e32 v[6:7], 0x3fb00000, v[42:43]
	;; [unrolled: 2-line block ×5, first 2 shown]
	v_fmac_f64_e32 v[6:7], 0x3fb00000, v[20:21]
	v_fmac_f64_e32 v[6:7], s[0:1], v[14:15]
	;; [unrolled: 1-line block ×3, first 2 shown]
	s_waitcnt vmcnt(0)
	v_add_f64 v[0:1], v[10:11], v[6:7]
	global_store_dwordx2 v[8:9], v[0:1], off
.LBB3_2:
	s_endpgm
	.section	.rodata,"a",@progbits
	.p2align	6, 0x0
	.amdhsa_kernel _Z5star4iPKdPd
		.amdhsa_group_segment_fixed_size 0
		.amdhsa_private_segment_fixed_size 0
		.amdhsa_kernarg_size 280
		.amdhsa_user_sgpr_count 2
		.amdhsa_user_sgpr_dispatch_ptr 0
		.amdhsa_user_sgpr_queue_ptr 0
		.amdhsa_user_sgpr_kernarg_segment_ptr 1
		.amdhsa_user_sgpr_dispatch_id 0
		.amdhsa_user_sgpr_kernarg_preload_length 0
		.amdhsa_user_sgpr_kernarg_preload_offset 0
		.amdhsa_user_sgpr_private_segment_size 0
		.amdhsa_uses_dynamic_stack 0
		.amdhsa_enable_private_segment 0
		.amdhsa_system_sgpr_workgroup_id_x 1
		.amdhsa_system_sgpr_workgroup_id_y 1
		.amdhsa_system_sgpr_workgroup_id_z 0
		.amdhsa_system_sgpr_workgroup_info 0
		.amdhsa_system_vgpr_workitem_id 1
		.amdhsa_next_free_vgpr 48
		.amdhsa_next_free_sgpr 8
		.amdhsa_accum_offset 48
		.amdhsa_reserve_vcc 1
		.amdhsa_float_round_mode_32 0
		.amdhsa_float_round_mode_16_64 0
		.amdhsa_float_denorm_mode_32 3
		.amdhsa_float_denorm_mode_16_64 3
		.amdhsa_dx10_clamp 1
		.amdhsa_ieee_mode 1
		.amdhsa_fp16_overflow 0
		.amdhsa_tg_split 0
		.amdhsa_exception_fp_ieee_invalid_op 0
		.amdhsa_exception_fp_denorm_src 0
		.amdhsa_exception_fp_ieee_div_zero 0
		.amdhsa_exception_fp_ieee_overflow 0
		.amdhsa_exception_fp_ieee_underflow 0
		.amdhsa_exception_fp_ieee_inexact 0
		.amdhsa_exception_int_div_zero 0
	.end_amdhsa_kernel
	.text
.Lfunc_end3:
	.size	_Z5star4iPKdPd, .Lfunc_end3-_Z5star4iPKdPd
                                        ; -- End function
	.section	.AMDGPU.csdata,"",@progbits
; Kernel info:
; codeLenInByte = 616
; NumSgprs: 14
; NumVgprs: 48
; NumAgprs: 0
; TotalNumVgprs: 48
; ScratchSize: 0
; MemoryBound: 0
; FloatMode: 240
; IeeeMode: 1
; LDSByteSize: 0 bytes/workgroup (compile time only)
; SGPRBlocks: 1
; VGPRBlocks: 5
; NumSGPRsForWavesPerEU: 14
; NumVGPRsForWavesPerEU: 48
; AccumOffset: 48
; Occupancy: 8
; WaveLimiterHint : 0
; COMPUTE_PGM_RSRC2:SCRATCH_EN: 0
; COMPUTE_PGM_RSRC2:USER_SGPR: 2
; COMPUTE_PGM_RSRC2:TRAP_HANDLER: 0
; COMPUTE_PGM_RSRC2:TGID_X_EN: 1
; COMPUTE_PGM_RSRC2:TGID_Y_EN: 1
; COMPUTE_PGM_RSRC2:TGID_Z_EN: 0
; COMPUTE_PGM_RSRC2:TIDIG_COMP_CNT: 1
; COMPUTE_PGM_RSRC3_GFX90A:ACCUM_OFFSET: 11
; COMPUTE_PGM_RSRC3_GFX90A:TG_SPLIT: 0
	.text
	.protected	_Z5star5iPKdPd          ; -- Begin function _Z5star5iPKdPd
	.globl	_Z5star5iPKdPd
	.p2align	8
	.type	_Z5star5iPKdPd,@function
_Z5star5iPKdPd:                         ; @_Z5star5iPKdPd
; %bb.0:
	s_load_dword s5, s[0:1], 0x24
	s_load_dword s4, s[0:1], 0x0
	v_and_b32_e32 v1, 0x3ff, v0
	v_bfe_u32 v0, v0, 10, 10
	s_waitcnt lgkmcnt(0)
	s_lshr_b32 s6, s5, 16
	s_and_b32 s5, s5, 0xffff
	s_mul_i32 s2, s2, s5
	s_mul_i32 s3, s3, s6
	v_add_u32_e32 v1, s2, v1
	v_add_u32_e32 v14, s3, v0
	s_add_i32 s2, s4, -5
	v_max_i32_e32 v0, v1, v14
	v_cmp_gt_i32_e32 vcc, s2, v0
	v_min_i32_e32 v0, v14, v1
	v_cmp_lt_i32_e64 s[2:3], 4, v0
	s_and_b64 s[2:3], s[2:3], vcc
	s_and_saveexec_b64 s[6:7], s[2:3]
	s_cbranch_execz .LBB4_2
; %bb.1:
	s_load_dwordx4 s[0:3], s[0:1], 0x8
	v_mul_lo_u32 v16, v1, s4
	v_ashrrev_i32_e32 v15, 31, v14
	v_ashrrev_i32_e32 v17, 31, v16
	v_lshl_add_u64 v[0:1], v[14:15], 0, v[16:17]
	v_add_u32_e32 v14, v16, v14
	s_waitcnt lgkmcnt(0)
	v_mov_b32_e32 v10, s2
	v_mov_b32_e32 v11, s3
	v_mad_u64_u32 v[16:17], s[2:3], s4, -5, v[14:15]
	v_ashrrev_i32_e32 v17, 31, v16
	v_lshl_add_u64 v[24:25], v[16:17], 3, s[0:1]
	v_add_u32_e32 v16, s4, v16
	v_ashrrev_i32_e32 v17, 31, v16
	v_lshl_add_u64 v[12:13], v[0:1], 3, s[0:1]
	v_lshl_add_u64 v[26:27], v[16:17], 3, s[0:1]
	v_add_u32_e32 v16, s4, v16
	global_load_dwordx2 v[8:9], v[12:13], off offset:-8
	global_load_dwordx4 v[0:3], v[12:13], off offset:-24
	global_load_dwordx4 v[4:7], v[12:13], off offset:-40
	v_add_u32_e32 v30, s4, v16
	v_ashrrev_i32_e32 v17, 31, v16
	v_ashrrev_i32_e32 v31, 31, v30
	v_lshl_add_u64 v[28:29], v[16:17], 3, s[0:1]
	v_lshl_add_u64 v[32:33], v[30:31], 3, s[0:1]
	global_load_dwordx2 v[20:21], v[24:25], off
	global_load_dwordx2 v[22:23], v[26:27], off
	;; [unrolled: 1-line block ×4, first 2 shown]
	v_add_u32_e32 v24, s4, v30
	v_ashrrev_i32_e32 v25, 31, v24
	v_lshl_add_u64 v[26:27], v[24:25], 3, s[0:1]
	v_lshl_add_u32 v24, s4, 1, v24
	v_ashrrev_i32_e32 v25, 31, v24
	v_lshl_add_u64 v[28:29], v[24:25], 3, s[0:1]
	v_add_u32_e32 v24, s4, v24
	v_ashrrev_i32_e32 v25, 31, v24
	v_lshl_add_u64 v[30:31], v[24:25], 3, s[0:1]
	v_add_u32_e32 v24, s4, v24
	;; [unrolled: 3-line block ×3, first 2 shown]
	v_ashrrev_i32_e32 v25, 31, v24
	global_load_dwordx2 v[34:35], v[26:27], off
	global_load_dwordx2 v[36:37], v[28:29], off
	global_load_dwordx2 v[38:39], v[30:31], off
	global_load_dwordx2 v[40:41], v[32:33], off
	v_lshl_add_u64 v[26:27], v[24:25], 3, s[0:1]
	global_load_dwordx2 v[32:33], v[26:27], off
	v_add_u32_e32 v24, s4, v24
	v_ashrrev_i32_e32 v25, 31, v24
	v_lshl_add_u64 v[42:43], v[24:25], 3, s[0:1]
	global_load_dwordx2 v[44:45], v[42:43], off
	global_load_dwordx4 v[24:27], v[12:13], off offset:8
	global_load_dwordx2 v[46:47], v[12:13], off offset:40
	global_load_dwordx4 v[28:31], v[12:13], off offset:24
	v_ashrrev_i32_e32 v15, 31, v14
	v_lshl_add_u64 v[10:11], v[14:15], 3, v[10:11]
	global_load_dwordx2 v[12:13], v[10:11], off
	s_mov_b32 s1, 0xbf999999
	s_mov_b32 s0, 0x9999999a
	s_mov_b32 s3, 0xbf947ae1
	s_mov_b32 s2, 0x47ae147b
	s_mov_b32 s5, 0xbfa11111
	s_mov_b32 s4, 0x11111111
	s_mov_b32 s7, 0xbfa99999
	s_mov_b32 s6, s0
	s_mov_b32 s9, 0xbfb99999
	s_mov_b32 s8, s0
	s_mov_b32 s11, 0x3fa99999
	s_mov_b32 s10, s0
	s_mov_b32 s13, 0x3f999999
	s_mov_b32 s12, s0
	s_waitcnt vmcnt(14)
	v_mul_f64 v[6:7], v[6:7], s[0:1]
	v_fmac_f64_e32 v[6:7], s[2:3], v[4:5]
	v_fmac_f64_e32 v[6:7], s[4:5], v[0:1]
	v_fmac_f64_e32 v[6:7], s[6:7], v[2:3]
	v_fmac_f64_e32 v[6:7], s[8:9], v[8:9]
	s_waitcnt vmcnt(13)
	v_fmac_f64_e32 v[6:7], s[2:3], v[20:21]
	s_waitcnt vmcnt(12)
	v_fmac_f64_e32 v[6:7], s[0:1], v[22:23]
	;; [unrolled: 2-line block ×4, first 2 shown]
	s_mov_b32 s1, 0x3fb99999
	s_mov_b32 s5, 0x3fa11111
	;; [unrolled: 1-line block ×3, first 2 shown]
	s_waitcnt vmcnt(9)
	v_fmac_f64_e32 v[6:7], s[8:9], v[34:35]
	s_waitcnt vmcnt(8)
	v_fmac_f64_e32 v[6:7], s[0:1], v[36:37]
	;; [unrolled: 2-line block ×7, first 2 shown]
	v_fmac_f64_e32 v[6:7], s[10:11], v[26:27]
	s_waitcnt vmcnt(1)
	v_fmac_f64_e32 v[6:7], s[4:5], v[28:29]
	v_fmac_f64_e32 v[6:7], s[12:13], v[30:31]
	;; [unrolled: 1-line block ×3, first 2 shown]
	s_waitcnt vmcnt(0)
	v_add_f64 v[0:1], v[12:13], v[6:7]
	global_store_dwordx2 v[10:11], v[0:1], off
.LBB4_2:
	s_endpgm
	.section	.rodata,"a",@progbits
	.p2align	6, 0x0
	.amdhsa_kernel _Z5star5iPKdPd
		.amdhsa_group_segment_fixed_size 0
		.amdhsa_private_segment_fixed_size 0
		.amdhsa_kernarg_size 280
		.amdhsa_user_sgpr_count 2
		.amdhsa_user_sgpr_dispatch_ptr 0
		.amdhsa_user_sgpr_queue_ptr 0
		.amdhsa_user_sgpr_kernarg_segment_ptr 1
		.amdhsa_user_sgpr_dispatch_id 0
		.amdhsa_user_sgpr_kernarg_preload_length 0
		.amdhsa_user_sgpr_kernarg_preload_offset 0
		.amdhsa_user_sgpr_private_segment_size 0
		.amdhsa_uses_dynamic_stack 0
		.amdhsa_enable_private_segment 0
		.amdhsa_system_sgpr_workgroup_id_x 1
		.amdhsa_system_sgpr_workgroup_id_y 1
		.amdhsa_system_sgpr_workgroup_id_z 0
		.amdhsa_system_sgpr_workgroup_info 0
		.amdhsa_system_vgpr_workitem_id 1
		.amdhsa_next_free_vgpr 48
		.amdhsa_next_free_sgpr 14
		.amdhsa_accum_offset 48
		.amdhsa_reserve_vcc 1
		.amdhsa_float_round_mode_32 0
		.amdhsa_float_round_mode_16_64 0
		.amdhsa_float_denorm_mode_32 3
		.amdhsa_float_denorm_mode_16_64 3
		.amdhsa_dx10_clamp 1
		.amdhsa_ieee_mode 1
		.amdhsa_fp16_overflow 0
		.amdhsa_tg_split 0
		.amdhsa_exception_fp_ieee_invalid_op 0
		.amdhsa_exception_fp_denorm_src 0
		.amdhsa_exception_fp_ieee_div_zero 0
		.amdhsa_exception_fp_ieee_overflow 0
		.amdhsa_exception_fp_ieee_underflow 0
		.amdhsa_exception_fp_ieee_inexact 0
		.amdhsa_exception_int_div_zero 0
	.end_amdhsa_kernel
	.text
.Lfunc_end4:
	.size	_Z5star5iPKdPd, .Lfunc_end4-_Z5star5iPKdPd
                                        ; -- End function
	.section	.AMDGPU.csdata,"",@progbits
; Kernel info:
; codeLenInByte = 752
; NumSgprs: 20
; NumVgprs: 48
; NumAgprs: 0
; TotalNumVgprs: 48
; ScratchSize: 0
; MemoryBound: 0
; FloatMode: 240
; IeeeMode: 1
; LDSByteSize: 0 bytes/workgroup (compile time only)
; SGPRBlocks: 2
; VGPRBlocks: 5
; NumSGPRsForWavesPerEU: 20
; NumVGPRsForWavesPerEU: 48
; AccumOffset: 48
; Occupancy: 8
; WaveLimiterHint : 0
; COMPUTE_PGM_RSRC2:SCRATCH_EN: 0
; COMPUTE_PGM_RSRC2:USER_SGPR: 2
; COMPUTE_PGM_RSRC2:TRAP_HANDLER: 0
; COMPUTE_PGM_RSRC2:TGID_X_EN: 1
; COMPUTE_PGM_RSRC2:TGID_Y_EN: 1
; COMPUTE_PGM_RSRC2:TGID_Z_EN: 0
; COMPUTE_PGM_RSRC2:TIDIG_COMP_CNT: 1
; COMPUTE_PGM_RSRC3_GFX90A:ACCUM_OFFSET: 11
; COMPUTE_PGM_RSRC3_GFX90A:TG_SPLIT: 0
	.text
	.protected	_Z5grid1iPKdPd          ; -- Begin function _Z5grid1iPKdPd
	.globl	_Z5grid1iPKdPd
	.p2align	8
	.type	_Z5grid1iPKdPd,@function
_Z5grid1iPKdPd:                         ; @_Z5grid1iPKdPd
; %bb.0:
	s_load_dword s5, s[0:1], 0x24
	s_load_dword s4, s[0:1], 0x0
	v_and_b32_e32 v1, 0x3ff, v0
	v_bfe_u32 v0, v0, 10, 10
	s_waitcnt lgkmcnt(0)
	s_lshr_b32 s6, s5, 16
	s_and_b32 s5, s5, 0xffff
	s_mul_i32 s2, s2, s5
	s_mul_i32 s3, s3, s6
	v_add_u32_e32 v2, s2, v1
	v_add_u32_e32 v0, s3, v0
	s_add_i32 s2, s4, -1
	v_max_i32_e32 v1, v2, v0
	v_cmp_gt_i32_e32 vcc, s2, v1
	v_min_i32_e32 v1, v0, v2
	v_cmp_lt_i32_e64 s[2:3], 0, v1
	s_and_b64 s[2:3], s[2:3], vcc
	s_and_saveexec_b64 s[6:7], s[2:3]
	s_cbranch_execz .LBB5_2
; %bb.1:
	s_load_dwordx4 s[0:3], s[0:1], 0x8
	v_add_u32_e32 v1, -1, v2
	v_mul_lo_u32 v4, v1, s4
	v_ashrrev_i32_e32 v5, 31, v4
	v_ashrrev_i32_e32 v1, 31, v0
	v_mul_lo_u32 v2, v2, s4
	v_lshl_add_u64 v[8:9], v[4:5], 0, v[0:1]
	v_ashrrev_i32_e32 v3, 31, v2
	s_waitcnt lgkmcnt(0)
	v_lshl_add_u64 v[8:9], v[8:9], 3, s[0:1]
	v_lshl_add_u64 v[10:11], v[0:1], 0, v[2:3]
	v_lshl_add_u64 v[10:11], v[10:11], 3, s[0:1]
	global_load_dwordx2 v[12:13], v[8:9], off offset:-8
	global_load_dwordx2 v[14:15], v[10:11], off offset:-8
	v_add_u32_e32 v8, v2, v0
	v_add_u32_e32 v4, v4, v0
	;; [unrolled: 1-line block ×3, first 2 shown]
	v_ashrrev_i32_e32 v1, 31, v0
	v_ashrrev_i32_e32 v5, 31, v4
	v_lshl_add_u64 v[16:17], v[0:1], 3, s[0:1]
	v_lshl_add_u64 v[4:5], v[4:5], 3, s[0:1]
	global_load_dwordx4 v[0:3], v[16:17], off
	global_load_dwordx2 v[18:19], v[4:5], off
	global_load_dwordx2 v[20:21], v[10:11], off offset:8
	v_mov_b32_e32 v6, s2
	v_mov_b32_e32 v7, s3
	v_ashrrev_i32_e32 v9, 31, v8
	v_lshl_add_u64 v[4:5], v[8:9], 3, v[6:7]
	global_load_dwordx2 v[6:7], v[4:5], off
	s_waitcnt vmcnt(4)
	v_ldexp_f64 v[8:9], -v[14:15], -2
	v_fmac_f64_e32 v[8:9], 0xbfd00000, v[12:13]
	s_waitcnt vmcnt(2)
	v_fmac_f64_e32 v[8:9], 0xbfd00000, v[18:19]
	v_fmac_f64_e32 v[8:9], 0x3fd00000, v[0:1]
	s_waitcnt vmcnt(1)
	v_fmac_f64_e32 v[8:9], 0x3fd00000, v[20:21]
	v_fmac_f64_e32 v[8:9], 0x3fd00000, v[2:3]
	s_waitcnt vmcnt(0)
	v_add_f64 v[0:1], v[6:7], v[8:9]
	global_store_dwordx2 v[4:5], v[0:1], off
.LBB5_2:
	s_endpgm
	.section	.rodata,"a",@progbits
	.p2align	6, 0x0
	.amdhsa_kernel _Z5grid1iPKdPd
		.amdhsa_group_segment_fixed_size 0
		.amdhsa_private_segment_fixed_size 0
		.amdhsa_kernarg_size 280
		.amdhsa_user_sgpr_count 2
		.amdhsa_user_sgpr_dispatch_ptr 0
		.amdhsa_user_sgpr_queue_ptr 0
		.amdhsa_user_sgpr_kernarg_segment_ptr 1
		.amdhsa_user_sgpr_dispatch_id 0
		.amdhsa_user_sgpr_kernarg_preload_length 0
		.amdhsa_user_sgpr_kernarg_preload_offset 0
		.amdhsa_user_sgpr_private_segment_size 0
		.amdhsa_uses_dynamic_stack 0
		.amdhsa_enable_private_segment 0
		.amdhsa_system_sgpr_workgroup_id_x 1
		.amdhsa_system_sgpr_workgroup_id_y 1
		.amdhsa_system_sgpr_workgroup_id_z 0
		.amdhsa_system_sgpr_workgroup_info 0
		.amdhsa_system_vgpr_workitem_id 1
		.amdhsa_next_free_vgpr 22
		.amdhsa_next_free_sgpr 8
		.amdhsa_accum_offset 24
		.amdhsa_reserve_vcc 1
		.amdhsa_float_round_mode_32 0
		.amdhsa_float_round_mode_16_64 0
		.amdhsa_float_denorm_mode_32 3
		.amdhsa_float_denorm_mode_16_64 3
		.amdhsa_dx10_clamp 1
		.amdhsa_ieee_mode 1
		.amdhsa_fp16_overflow 0
		.amdhsa_tg_split 0
		.amdhsa_exception_fp_ieee_invalid_op 0
		.amdhsa_exception_fp_denorm_src 0
		.amdhsa_exception_fp_ieee_div_zero 0
		.amdhsa_exception_fp_ieee_overflow 0
		.amdhsa_exception_fp_ieee_underflow 0
		.amdhsa_exception_fp_ieee_inexact 0
		.amdhsa_exception_int_div_zero 0
	.end_amdhsa_kernel
	.text
.Lfunc_end5:
	.size	_Z5grid1iPKdPd, .Lfunc_end5-_Z5grid1iPKdPd
                                        ; -- End function
	.section	.AMDGPU.csdata,"",@progbits
; Kernel info:
; codeLenInByte = 364
; NumSgprs: 14
; NumVgprs: 22
; NumAgprs: 0
; TotalNumVgprs: 22
; ScratchSize: 0
; MemoryBound: 0
; FloatMode: 240
; IeeeMode: 1
; LDSByteSize: 0 bytes/workgroup (compile time only)
; SGPRBlocks: 1
; VGPRBlocks: 2
; NumSGPRsForWavesPerEU: 14
; NumVGPRsForWavesPerEU: 22
; AccumOffset: 24
; Occupancy: 8
; WaveLimiterHint : 0
; COMPUTE_PGM_RSRC2:SCRATCH_EN: 0
; COMPUTE_PGM_RSRC2:USER_SGPR: 2
; COMPUTE_PGM_RSRC2:TRAP_HANDLER: 0
; COMPUTE_PGM_RSRC2:TGID_X_EN: 1
; COMPUTE_PGM_RSRC2:TGID_Y_EN: 1
; COMPUTE_PGM_RSRC2:TGID_Z_EN: 0
; COMPUTE_PGM_RSRC2:TIDIG_COMP_CNT: 1
; COMPUTE_PGM_RSRC3_GFX90A:ACCUM_OFFSET: 5
; COMPUTE_PGM_RSRC3_GFX90A:TG_SPLIT: 0
	.text
	.protected	_Z5grid2iPKdPd          ; -- Begin function _Z5grid2iPKdPd
	.globl	_Z5grid2iPKdPd
	.p2align	8
	.type	_Z5grid2iPKdPd,@function
_Z5grid2iPKdPd:                         ; @_Z5grid2iPKdPd
; %bb.0:
	s_load_dword s5, s[0:1], 0x24
	s_load_dword s4, s[0:1], 0x0
	v_and_b32_e32 v1, 0x3ff, v0
	v_bfe_u32 v0, v0, 10, 10
	s_waitcnt lgkmcnt(0)
	s_lshr_b32 s6, s5, 16
	s_and_b32 s5, s5, 0xffff
	s_mul_i32 s2, s2, s5
	s_mul_i32 s3, s3, s6
	v_add_u32_e32 v8, s2, v1
	v_add_u32_e32 v12, s3, v0
	s_add_i32 s2, s4, -2
	v_max_i32_e32 v0, v8, v12
	v_cmp_gt_i32_e32 vcc, s2, v0
	v_min_i32_e32 v0, v12, v8
	v_cmp_lt_i32_e64 s[2:3], 1, v0
	s_and_b64 s[2:3], s[2:3], vcc
	s_and_saveexec_b64 s[6:7], s[2:3]
	s_cbranch_execz .LBB6_2
; %bb.1:
	s_load_dwordx4 s[0:3], s[0:1], 0x8
	v_add_u32_e32 v0, -2, v8
	v_mul_lo_u32 v16, v0, s4
	v_ashrrev_i32_e32 v17, 31, v16
	v_ashrrev_i32_e32 v13, 31, v12
	v_add_u32_e32 v18, s4, v16
	v_lshl_add_u64 v[0:1], v[16:17], 0, v[12:13]
	v_ashrrev_i32_e32 v19, 31, v18
	s_waitcnt lgkmcnt(0)
	v_lshl_add_u64 v[10:11], v[0:1], 3, s[0:1]
	v_lshl_add_u64 v[0:1], v[18:19], 0, v[12:13]
	v_lshl_add_u64 v[14:15], v[0:1], 3, s[0:1]
	global_load_dwordx4 v[0:3], v[10:11], off offset:-16
	global_load_dwordx4 v[4:7], v[14:15], off offset:-16
	v_mul_lo_u32 v14, v8, s4
	v_ashrrev_i32_e32 v15, 31, v14
	v_lshl_add_u64 v[8:9], v[12:13], 0, v[14:15]
	v_add_u32_e32 v20, s4, v14
	v_lshl_add_u64 v[28:29], v[8:9], 3, s[0:1]
	v_ashrrev_i32_e32 v21, 31, v20
	v_add_u32_e32 v24, s4, v20
	global_load_dwordx4 v[8:11], v[28:29], off offset:-16
	v_lshl_add_u64 v[22:23], v[20:21], 0, v[12:13]
	v_ashrrev_i32_e32 v25, 31, v24
	v_lshl_add_u64 v[22:23], v[22:23], 3, s[0:1]
	v_lshl_add_u64 v[26:27], v[24:25], 0, v[12:13]
	;; [unrolled: 1-line block ×3, first 2 shown]
	global_load_dwordx2 v[32:33], v[22:23], off offset:-16
	global_load_dwordx2 v[34:35], v[26:27], off offset:-8
	v_add_u32_e32 v16, v16, v12
	v_ashrrev_i32_e32 v17, 31, v16
	v_lshl_add_u64 v[22:23], v[16:17], 3, s[0:1]
	v_add_u32_e32 v16, v18, v12
	v_add_u32_e32 v20, v20, v12
	v_ashrrev_i32_e32 v17, 31, v16
	v_ashrrev_i32_e32 v21, 31, v20
	v_lshl_add_u64 v[36:37], v[16:17], 3, s[0:1]
	global_load_dwordx4 v[16:19], v[22:23], off
	global_load_dwordx2 v[38:39], v[36:37], off
	v_lshl_add_u64 v[30:31], v[20:21], 3, s[0:1]
	v_add_u32_e32 v24, v24, v12
	global_load_dwordx4 v[20:23], v[30:31], off
	v_ashrrev_i32_e32 v25, 31, v24
	v_lshl_add_u64 v[40:41], v[24:25], 3, s[0:1]
	global_load_dwordx2 v[42:43], v[30:31], off offset:16
	global_load_dwordx4 v[24:27], v[40:41], off
	v_add_u32_e32 v12, v14, v12
	global_load_dwordx4 v[28:31], v[28:29], off offset:8
	s_nop 0
	global_load_dwordx2 v[46:47], v[40:41], off offset:16
	global_load_dwordx2 v[48:49], v[36:37], off offset:16
	v_mov_b32_e32 v44, s2
	v_mov_b32_e32 v45, s3
	v_ashrrev_i32_e32 v13, 31, v12
	v_lshl_add_u64 v[12:13], v[12:13], 3, v[44:45]
	global_load_dwordx2 v[14:15], v[12:13], off
	s_mov_b32 s0, 0x55555555
	s_mov_b32 s1, 0xbf955555
	s_mov_b32 s3, 0x3f955555
	s_mov_b32 s2, s0
	s_waitcnt vmcnt(12)
	v_mul_f64 v[4:5], v[4:5], s[0:1]
	v_fmac_f64_e32 v[4:5], 0xbfb00000, v[0:1]
	s_waitcnt vmcnt(11)
	v_fmac_f64_e32 v[4:5], s[0:1], v[8:9]
	s_waitcnt vmcnt(10)
	v_fmac_f64_e32 v[4:5], s[0:1], v[32:33]
	v_fmac_f64_e32 v[4:5], s[0:1], v[2:3]
	;; [unrolled: 1-line block ×4, first 2 shown]
	s_waitcnt vmcnt(9)
	v_fmac_f64_e32 v[4:5], s[2:3], v[34:35]
	s_waitcnt vmcnt(8)
	v_fmac_f64_e32 v[4:5], s[0:1], v[16:17]
	;; [unrolled: 2-line block ×5, first 2 shown]
	v_fmac_f64_e32 v[4:5], s[0:1], v[18:19]
	s_waitcnt vmcnt(3)
	v_fmac_f64_e32 v[4:5], 0x3fc00000, v[28:29]
	v_fmac_f64_e32 v[4:5], 0x3fc00000, v[22:23]
	;; [unrolled: 1-line block ×3, first 2 shown]
	s_waitcnt vmcnt(1)
	v_fmac_f64_e32 v[4:5], s[2:3], v[48:49]
	v_fmac_f64_e32 v[4:5], s[2:3], v[30:31]
	;; [unrolled: 1-line block ×4, first 2 shown]
	s_waitcnt vmcnt(0)
	v_add_f64 v[0:1], v[14:15], v[4:5]
	global_store_dwordx2 v[12:13], v[0:1], off
.LBB6_2:
	s_endpgm
	.section	.rodata,"a",@progbits
	.p2align	6, 0x0
	.amdhsa_kernel _Z5grid2iPKdPd
		.amdhsa_group_segment_fixed_size 0
		.amdhsa_private_segment_fixed_size 0
		.amdhsa_kernarg_size 280
		.amdhsa_user_sgpr_count 2
		.amdhsa_user_sgpr_dispatch_ptr 0
		.amdhsa_user_sgpr_queue_ptr 0
		.amdhsa_user_sgpr_kernarg_segment_ptr 1
		.amdhsa_user_sgpr_dispatch_id 0
		.amdhsa_user_sgpr_kernarg_preload_length 0
		.amdhsa_user_sgpr_kernarg_preload_offset 0
		.amdhsa_user_sgpr_private_segment_size 0
		.amdhsa_uses_dynamic_stack 0
		.amdhsa_enable_private_segment 0
		.amdhsa_system_sgpr_workgroup_id_x 1
		.amdhsa_system_sgpr_workgroup_id_y 1
		.amdhsa_system_sgpr_workgroup_id_z 0
		.amdhsa_system_sgpr_workgroup_info 0
		.amdhsa_system_vgpr_workitem_id 1
		.amdhsa_next_free_vgpr 50
		.amdhsa_next_free_sgpr 8
		.amdhsa_accum_offset 52
		.amdhsa_reserve_vcc 1
		.amdhsa_float_round_mode_32 0
		.amdhsa_float_round_mode_16_64 0
		.amdhsa_float_denorm_mode_32 3
		.amdhsa_float_denorm_mode_16_64 3
		.amdhsa_dx10_clamp 1
		.amdhsa_ieee_mode 1
		.amdhsa_fp16_overflow 0
		.amdhsa_tg_split 0
		.amdhsa_exception_fp_ieee_invalid_op 0
		.amdhsa_exception_fp_denorm_src 0
		.amdhsa_exception_fp_ieee_div_zero 0
		.amdhsa_exception_fp_ieee_overflow 0
		.amdhsa_exception_fp_ieee_underflow 0
		.amdhsa_exception_fp_ieee_inexact 0
		.amdhsa_exception_int_div_zero 0
	.end_amdhsa_kernel
	.text
.Lfunc_end6:
	.size	_Z5grid2iPKdPd, .Lfunc_end6-_Z5grid2iPKdPd
                                        ; -- End function
	.section	.AMDGPU.csdata,"",@progbits
; Kernel info:
; codeLenInByte = 660
; NumSgprs: 14
; NumVgprs: 50
; NumAgprs: 0
; TotalNumVgprs: 50
; ScratchSize: 0
; MemoryBound: 0
; FloatMode: 240
; IeeeMode: 1
; LDSByteSize: 0 bytes/workgroup (compile time only)
; SGPRBlocks: 1
; VGPRBlocks: 6
; NumSGPRsForWavesPerEU: 14
; NumVGPRsForWavesPerEU: 50
; AccumOffset: 52
; Occupancy: 8
; WaveLimiterHint : 0
; COMPUTE_PGM_RSRC2:SCRATCH_EN: 0
; COMPUTE_PGM_RSRC2:USER_SGPR: 2
; COMPUTE_PGM_RSRC2:TRAP_HANDLER: 0
; COMPUTE_PGM_RSRC2:TGID_X_EN: 1
; COMPUTE_PGM_RSRC2:TGID_Y_EN: 1
; COMPUTE_PGM_RSRC2:TGID_Z_EN: 0
; COMPUTE_PGM_RSRC2:TIDIG_COMP_CNT: 1
; COMPUTE_PGM_RSRC3_GFX90A:ACCUM_OFFSET: 12
; COMPUTE_PGM_RSRC3_GFX90A:TG_SPLIT: 0
	.text
	.protected	_Z5grid3iPKdPd          ; -- Begin function _Z5grid3iPKdPd
	.globl	_Z5grid3iPKdPd
	.p2align	8
	.type	_Z5grid3iPKdPd,@function
_Z5grid3iPKdPd:                         ; @_Z5grid3iPKdPd
; %bb.0:
	s_load_dword s5, s[0:1], 0x24
	s_load_dword s4, s[0:1], 0x0
	v_and_b32_e32 v1, 0x3ff, v0
	v_bfe_u32 v0, v0, 10, 10
	s_waitcnt lgkmcnt(0)
	s_lshr_b32 s6, s5, 16
	s_and_b32 s5, s5, 0xffff
	s_mul_i32 s2, s2, s5
	s_mul_i32 s3, s3, s6
	v_add_u32_e32 v12, s2, v1
	v_add_u32_e32 v24, s3, v0
	s_add_i32 s2, s4, -3
	v_max_i32_e32 v0, v12, v24
	v_cmp_gt_i32_e32 vcc, s2, v0
	v_min_i32_e32 v0, v24, v12
	v_cmp_lt_i32_e64 s[2:3], 2, v0
	s_and_b64 s[2:3], s[2:3], vcc
	s_and_saveexec_b64 s[6:7], s[2:3]
	s_cbranch_execz .LBB7_2
; %bb.1:
	s_load_dwordx4 s[0:3], s[0:1], 0x8
	v_add_u32_e32 v0, -3, v12
	v_mul_lo_u32 v26, v0, s4
	v_add_u32_e32 v28, s4, v26
	v_ashrrev_i32_e32 v25, 31, v24
	v_ashrrev_i32_e32 v29, 31, v28
	;; [unrolled: 1-line block ×3, first 2 shown]
	v_lshl_add_u64 v[4:5], v[28:29], 0, v[24:25]
	v_add_u32_e32 v32, s4, v28
	v_lshl_add_u64 v[0:1], v[26:27], 0, v[24:25]
	s_waitcnt lgkmcnt(0)
	v_lshl_add_u64 v[56:57], v[4:5], 3, s[0:1]
	v_ashrrev_i32_e32 v33, 31, v32
	v_mul_lo_u32 v34, v12, s4
	v_lshl_add_u64 v[54:55], v[0:1], 3, s[0:1]
	global_load_dwordx4 v[4:7], v[56:57], off offset:-24
	v_lshl_add_u64 v[8:9], v[32:33], 0, v[24:25]
	v_ashrrev_i32_e32 v35, 31, v34
	global_load_dwordx4 v[0:3], v[54:55], off offset:-24
	v_lshl_add_u64 v[58:59], v[8:9], 3, s[0:1]
	v_lshl_add_u64 v[12:13], v[24:25], 0, v[34:35]
	v_add_u32_e32 v40, s4, v34
	global_load_dwordx4 v[8:11], v[58:59], off offset:-24
	v_lshl_add_u64 v[30:31], v[12:13], 3, s[0:1]
	global_load_dwordx4 v[12:15], v[30:31], off offset:-24
	v_ashrrev_i32_e32 v41, 31, v40
	v_add_u32_e32 v50, s4, v40
	v_lshl_add_u64 v[16:17], v[40:41], 0, v[24:25]
	v_ashrrev_i32_e32 v51, 31, v50
	v_lshl_add_u64 v[20:21], v[16:17], 3, s[0:1]
	v_lshl_add_u64 v[16:17], v[50:51], 0, v[24:25]
	;; [unrolled: 1-line block ×3, first 2 shown]
	global_load_dwordx4 v[16:19], v[20:21], off offset:-24
	global_load_dwordx2 v[42:43], v[36:37], off offset:-24
	v_add_u32_e32 v52, s4, v50
	v_ashrrev_i32_e32 v53, 31, v52
	v_lshl_add_u64 v[20:21], v[52:53], 0, v[24:25]
	v_lshl_add_u64 v[60:61], v[20:21], 3, s[0:1]
	global_load_dwordx4 v[20:23], v[60:61], off offset:-16
	global_load_dwordx2 v[48:49], v[54:55], off offset:-8
	global_load_dwordx2 v[46:47], v[56:57], off offset:-8
	;; [unrolled: 1-line block ×4, first 2 shown]
	s_mov_b32 s8, 0x16c16c17
	s_mov_b32 s9, 0xbf76c16c
	s_mov_b32 s5, 0xbf9c71c7
	s_mov_b32 s4, 0x1c71c71c
	v_add_u32_e32 v54, v34, v24
	v_add_u32_e32 v26, v26, v24
	;; [unrolled: 1-line block ×4, first 2 shown]
	v_ashrrev_i32_e32 v27, 31, v26
	v_ashrrev_i32_e32 v35, 31, v34
	;; [unrolled: 1-line block ×3, first 2 shown]
	v_add_u32_e32 v40, v50, v24
	v_add_u32_e32 v50, v32, v24
	v_lshl_add_u64 v[32:33], v[26:27], 3, s[0:1]
	v_lshl_add_u64 v[28:29], v[28:29], 3, s[0:1]
	;; [unrolled: 1-line block ×3, first 2 shown]
	v_add_u32_e32 v52, v52, v24
	global_load_dwordx2 v[60:61], v[32:33], off offset:16
	global_load_dwordx4 v[24:27], v[32:33], off
	v_ashrrev_i32_e32 v41, 31, v40
	global_load_dwordx4 v[32:35], v[28:29], off
	v_ashrrev_i32_e32 v51, 31, v50
	v_lshl_add_u64 v[58:59], v[40:41], 3, s[0:1]
	v_lshl_add_u64 v[40:41], v[50:51], 3, s[0:1]
	s_mov_b32 s7, 0xbfa55555
	s_mov_b32 s6, 0x55555555
	v_ashrrev_i32_e32 v53, 31, v52
	v_lshl_add_u64 v[66:67], v[52:53], 3, s[0:1]
	s_mov_b32 s1, 0x3f76c16c
	s_mov_b32 s0, s8
	v_ashrrev_i32_e32 v55, 31, v54
	s_waitcnt vmcnt(13)
	v_mul_f64 v[62:63], v[4:5], s[8:9]
	s_waitcnt vmcnt(12)
	v_fmac_f64_e32 v[62:63], s[4:5], v[0:1]
	s_mov_b32 s5, 0xbf8c71c7
	s_waitcnt vmcnt(11)
	v_fmac_f64_e32 v[62:63], s[8:9], v[8:9]
	s_waitcnt vmcnt(10)
	v_fmac_f64_e32 v[62:63], s[8:9], v[12:13]
	;; [unrolled: 2-line block ×4, first 2 shown]
	v_fmac_f64_e32 v[62:63], s[8:9], v[2:3]
	global_load_dwordx4 v[0:3], v[56:57], off
	global_load_dwordx2 v[64:65], v[36:37], off offset:-8
	v_fmac_f64_e32 v[62:63], s[6:7], v[6:7]
	global_load_dwordx2 v[36:37], v[40:41], off
	global_load_dwordx4 v[4:7], v[58:59], off
	v_fmac_f64_e32 v[62:63], s[4:5], v[10:11]
	v_fmac_f64_e32 v[62:63], s[4:5], v[14:15]
	global_load_dwordx4 v[8:11], v[66:67], off
	global_load_dwordx4 v[12:15], v[56:57], off offset:16
	v_fmac_f64_e32 v[62:63], s[4:5], v[18:19]
	global_load_dwordx4 v[16:19], v[30:31], off offset:8
	s_waitcnt vmcnt(14)
	v_fmac_f64_e32 v[62:63], s[0:1], v[20:21]
	global_load_dwordx4 v[40:43], v[40:41], off offset:16
	s_waitcnt vmcnt(14)
	v_fmac_f64_e32 v[62:63], s[8:9], v[48:49]
	s_waitcnt vmcnt(13)
	v_fmac_f64_e32 v[62:63], s[4:5], v[46:47]
	global_load_dwordx4 v[46:49], v[58:59], off offset:16
	s_mov_b32 s7, 0xbfb55555
	s_waitcnt vmcnt(13)
	v_fmac_f64_e32 v[62:63], s[6:7], v[44:45]
	global_load_dwordx4 v[50:53], v[66:67], off offset:16
	global_load_dwordx2 v[20:21], v[28:29], off offset:24
	global_load_dwordx2 v[44:45], v[30:31], off offset:24
	v_mov_b32_e32 v28, s2
	v_mov_b32_e32 v29, s3
	v_lshl_add_u64 v[28:29], v[54:55], 3, v[28:29]
	global_load_dwordx2 v[30:31], v[28:29], off
	s_waitcnt vmcnt(16)
	v_fmac_f64_e32 v[62:63], s[6:7], v[38:39]
	s_mov_b32 s3, 0x3f8c71c7
	s_mov_b32 s2, s4
	s_waitcnt vmcnt(11)
	v_fmac_f64_e32 v[62:63], s[2:3], v[64:65]
	v_fmac_f64_e32 v[62:63], s[0:1], v[22:23]
	;; [unrolled: 1-line block ×4, first 2 shown]
	s_waitcnt vmcnt(10)
	v_fmac_f64_e32 v[62:63], s[6:7], v[36:37]
	s_mov_b32 s7, 0x3fb55555
	v_fmac_f64_e32 v[62:63], s[6:7], v[0:1]
	s_waitcnt vmcnt(9)
	v_fmac_f64_e32 v[62:63], s[2:3], v[4:5]
	s_waitcnt vmcnt(8)
	v_fmac_f64_e32 v[62:63], s[0:1], v[8:9]
	v_fmac_f64_e32 v[62:63], s[8:9], v[26:27]
	;; [unrolled: 1-line block ×3, first 2 shown]
	s_waitcnt vmcnt(6)
	v_fmac_f64_e32 v[62:63], s[6:7], v[16:17]
	v_fmac_f64_e32 v[62:63], s[6:7], v[2:3]
	;; [unrolled: 1-line block ×5, first 2 shown]
	s_waitcnt vmcnt(5)
	v_fmac_f64_e32 v[62:63], s[2:3], v[40:41]
	v_fmac_f64_e32 v[62:63], s[2:3], v[18:19]
	;; [unrolled: 1-line block ×3, first 2 shown]
	s_mov_b32 s7, 0x3fa55555
	s_waitcnt vmcnt(4)
	v_fmac_f64_e32 v[62:63], s[6:7], v[46:47]
	s_waitcnt vmcnt(3)
	v_fmac_f64_e32 v[62:63], s[0:1], v[50:51]
	;; [unrolled: 2-line block ×3, first 2 shown]
	v_fmac_f64_e32 v[62:63], s[0:1], v[42:43]
	s_waitcnt vmcnt(1)
	v_fmac_f64_e32 v[62:63], s[0:1], v[44:45]
	v_fmac_f64_e32 v[62:63], s[0:1], v[14:15]
	;; [unrolled: 1-line block ×3, first 2 shown]
	s_mov_b32 s5, 0x3f9c71c7
	v_fmac_f64_e32 v[62:63], s[4:5], v[52:53]
	s_waitcnt vmcnt(0)
	v_add_f64 v[0:1], v[30:31], v[62:63]
	global_store_dwordx2 v[28:29], v[0:1], off
.LBB7_2:
	s_endpgm
	.section	.rodata,"a",@progbits
	.p2align	6, 0x0
	.amdhsa_kernel _Z5grid3iPKdPd
		.amdhsa_group_segment_fixed_size 0
		.amdhsa_private_segment_fixed_size 0
		.amdhsa_kernarg_size 280
		.amdhsa_user_sgpr_count 2
		.amdhsa_user_sgpr_dispatch_ptr 0
		.amdhsa_user_sgpr_queue_ptr 0
		.amdhsa_user_sgpr_kernarg_segment_ptr 1
		.amdhsa_user_sgpr_dispatch_id 0
		.amdhsa_user_sgpr_kernarg_preload_length 0
		.amdhsa_user_sgpr_kernarg_preload_offset 0
		.amdhsa_user_sgpr_private_segment_size 0
		.amdhsa_uses_dynamic_stack 0
		.amdhsa_enable_private_segment 0
		.amdhsa_system_sgpr_workgroup_id_x 1
		.amdhsa_system_sgpr_workgroup_id_y 1
		.amdhsa_system_sgpr_workgroup_id_z 0
		.amdhsa_system_sgpr_workgroup_info 0
		.amdhsa_system_vgpr_workitem_id 1
		.amdhsa_next_free_vgpr 68
		.amdhsa_next_free_sgpr 10
		.amdhsa_accum_offset 68
		.amdhsa_reserve_vcc 1
		.amdhsa_float_round_mode_32 0
		.amdhsa_float_round_mode_16_64 0
		.amdhsa_float_denorm_mode_32 3
		.amdhsa_float_denorm_mode_16_64 3
		.amdhsa_dx10_clamp 1
		.amdhsa_ieee_mode 1
		.amdhsa_fp16_overflow 0
		.amdhsa_tg_split 0
		.amdhsa_exception_fp_ieee_invalid_op 0
		.amdhsa_exception_fp_denorm_src 0
		.amdhsa_exception_fp_ieee_div_zero 0
		.amdhsa_exception_fp_ieee_overflow 0
		.amdhsa_exception_fp_ieee_underflow 0
		.amdhsa_exception_fp_ieee_inexact 0
		.amdhsa_exception_int_div_zero 0
	.end_amdhsa_kernel
	.text
.Lfunc_end7:
	.size	_Z5grid3iPKdPd, .Lfunc_end7-_Z5grid3iPKdPd
                                        ; -- End function
	.section	.AMDGPU.csdata,"",@progbits
; Kernel info:
; codeLenInByte = 1024
; NumSgprs: 16
; NumVgprs: 68
; NumAgprs: 0
; TotalNumVgprs: 68
; ScratchSize: 0
; MemoryBound: 0
; FloatMode: 240
; IeeeMode: 1
; LDSByteSize: 0 bytes/workgroup (compile time only)
; SGPRBlocks: 1
; VGPRBlocks: 8
; NumSGPRsForWavesPerEU: 16
; NumVGPRsForWavesPerEU: 68
; AccumOffset: 68
; Occupancy: 7
; WaveLimiterHint : 0
; COMPUTE_PGM_RSRC2:SCRATCH_EN: 0
; COMPUTE_PGM_RSRC2:USER_SGPR: 2
; COMPUTE_PGM_RSRC2:TRAP_HANDLER: 0
; COMPUTE_PGM_RSRC2:TGID_X_EN: 1
; COMPUTE_PGM_RSRC2:TGID_Y_EN: 1
; COMPUTE_PGM_RSRC2:TGID_Z_EN: 0
; COMPUTE_PGM_RSRC2:TIDIG_COMP_CNT: 1
; COMPUTE_PGM_RSRC3_GFX90A:ACCUM_OFFSET: 16
; COMPUTE_PGM_RSRC3_GFX90A:TG_SPLIT: 0
	.text
	.protected	_Z5grid4iPKdPd          ; -- Begin function _Z5grid4iPKdPd
	.globl	_Z5grid4iPKdPd
	.p2align	8
	.type	_Z5grid4iPKdPd,@function
_Z5grid4iPKdPd:                         ; @_Z5grid4iPKdPd
; %bb.0:
	s_load_dword s4, s[0:1], 0x24
	s_load_dword s8, s[0:1], 0x0
	v_and_b32_e32 v1, 0x3ff, v0
	v_bfe_u32 v0, v0, 10, 10
	s_waitcnt lgkmcnt(0)
	s_lshr_b32 s5, s4, 16
	s_and_b32 s4, s4, 0xffff
	s_mul_i32 s2, s2, s4
	s_mul_i32 s3, s3, s5
	v_add_u32_e32 v16, s2, v1
	v_add_u32_e32 v28, s3, v0
	s_add_i32 s2, s8, -4
	v_max_i32_e32 v0, v16, v28
	v_cmp_gt_i32_e32 vcc, s2, v0
	v_min_i32_e32 v0, v28, v16
	v_cmp_lt_i32_e64 s[2:3], 3, v0
	s_and_b64 s[2:3], s[2:3], vcc
	s_and_saveexec_b64 s[4:5], s[2:3]
	s_cbranch_execz .LBB8_2
; %bb.1:
	s_load_dwordx4 s[0:3], s[0:1], 0x8
	v_add_u32_e32 v0, -4, v16
	v_mul_lo_u32 v36, v0, s8
	v_add_u32_e32 v38, s8, v36
	v_ashrrev_i32_e32 v29, 31, v28
	v_ashrrev_i32_e32 v39, 31, v38
	;; [unrolled: 1-line block ×3, first 2 shown]
	v_lshl_add_u64 v[4:5], v[38:39], 0, v[28:29]
	v_add_u32_e32 v40, s8, v38
	v_lshl_add_u64 v[0:1], v[36:37], 0, v[28:29]
	s_waitcnt lgkmcnt(0)
	v_lshl_add_u64 v[52:53], v[4:5], 3, s[0:1]
	v_ashrrev_i32_e32 v41, 31, v40
	v_add_u32_e32 v42, s8, v40
	v_lshl_add_u64 v[48:49], v[0:1], 3, s[0:1]
	global_load_dwordx4 v[4:7], v[52:53], off offset:-32
	v_lshl_add_u64 v[8:9], v[40:41], 0, v[28:29]
	v_ashrrev_i32_e32 v43, 31, v42
	global_load_dwordx4 v[0:3], v[48:49], off offset:-32
	v_lshl_add_u64 v[54:55], v[8:9], 3, s[0:1]
	v_lshl_add_u64 v[12:13], v[42:43], 0, v[28:29]
	global_load_dwordx4 v[8:11], v[54:55], off offset:-32
	v_lshl_add_u64 v[56:57], v[12:13], 3, s[0:1]
	global_load_dwordx4 v[12:15], v[56:57], off offset:-32
	v_mul_lo_u32 v30, v16, s8
	v_ashrrev_i32_e32 v31, 31, v30
	v_add_u32_e32 v50, s8, v30
	s_mov_b32 s4, 0x92492492
	v_lshl_add_u64 v[16:17], v[28:29], 0, v[30:31]
	v_ashrrev_i32_e32 v51, 31, v50
	s_mov_b32 s5, 0xbf624924
	v_add_u32_e32 v46, s8, v50
	v_lshl_add_u64 v[32:33], v[16:17], 3, s[0:1]
	v_lshl_add_u64 v[20:21], v[50:51], 0, v[28:29]
	v_ashrrev_i32_e32 v47, 31, v46
	global_load_dwordx4 v[16:19], v[32:33], off offset:-32
	v_lshl_add_u64 v[58:59], v[20:21], 3, s[0:1]
	global_load_dwordx4 v[20:23], v[58:59], off offset:-32
	v_add_u32_e32 v44, s8, v46
	v_lshl_add_u64 v[24:25], v[46:47], 0, v[28:29]
	v_ashrrev_i32_e32 v45, 31, v44
	v_lshl_add_u64 v[24:25], v[24:25], 3, s[0:1]
	v_lshl_add_u64 v[26:27], v[44:45], 0, v[28:29]
	;; [unrolled: 1-line block ×3, first 2 shown]
	s_mov_b32 s7, 0xbf955555
	s_mov_b32 s6, 0x55555555
	;; [unrolled: 1-line block ×7, first 2 shown]
	v_add_u32_e32 v40, v40, v28
	v_ashrrev_i32_e32 v41, 31, v40
	s_mov_b32 s15, 0x3f855555
	s_mov_b32 s14, s6
	v_mov_b32_e32 v31, s3
	s_waitcnt vmcnt(5)
	v_mul_f64 v[34:35], v[4:5], s[4:5]
	s_waitcnt vmcnt(4)
	v_fmac_f64_e32 v[34:35], 0xbf900000, v[0:1]
	s_waitcnt vmcnt(3)
	v_fmac_f64_e32 v[34:35], s[4:5], v[8:9]
	;; [unrolled: 2-line block ×3, first 2 shown]
	global_load_dwordx2 v[12:13], v[24:25], off offset:-8
	global_load_dwordx4 v[60:63], v[24:25], off offset:-32
	global_load_dwordx2 v[0:1], v[64:65], off offset:-32
	s_nop 0
	global_load_dwordx4 v[24:27], v[64:65], off offset:-16
	s_waitcnt vmcnt(5)
	v_fmac_f64_e32 v[34:35], s[4:5], v[16:17]
	global_load_dwordx4 v[64:67], v[52:53], off offset:-16
	s_waitcnt vmcnt(5)
	v_fmac_f64_e32 v[34:35], s[4:5], v[20:21]
	v_add_u32_e32 v20, s8, v44
	v_ashrrev_i32_e32 v21, 31, v20
	s_mov_b32 s8, s4
	s_waitcnt vmcnt(3)
	v_fmac_f64_e32 v[34:35], s[4:5], v[60:61]
	s_waitcnt vmcnt(2)
	v_fmac_f64_e32 v[34:35], s[4:5], v[0:1]
	v_fmac_f64_e32 v[34:35], s[4:5], v[2:3]
	;; [unrolled: 1-line block ×3, first 2 shown]
	v_lshl_add_u64 v[0:1], v[20:21], 0, v[28:29]
	v_fmac_f64_e32 v[34:35], s[10:11], v[10:11]
	v_lshl_add_u64 v[4:5], v[0:1], 3, s[0:1]
	global_load_dwordx4 v[6:9], v[48:49], off offset:-16
	v_fmac_f64_e32 v[34:35], s[10:11], v[14:15]
	global_load_dwordx4 v[0:3], v[4:5], off offset:-24
	global_load_dwordx4 v[14:17], v[54:55], off offset:-16
	v_fmac_f64_e32 v[34:35], s[10:11], v[18:19]
	global_load_dwordx4 v[52:55], v[56:57], off offset:-16
	v_fmac_f64_e32 v[34:35], s[10:11], v[22:23]
	v_fmac_f64_e32 v[34:35], s[10:11], v[62:63]
	global_load_dwordx4 v[60:63], v[32:33], off offset:-16
	global_load_dwordx2 v[10:11], v[58:59], off offset:-16
	global_load_dwordx2 v[18:19], v[4:5], off offset:-8
	s_mov_b32 s7, 0xbf855555
	v_add_u32_e32 v4, v36, v28
	v_ashrrev_i32_e32 v5, 31, v4
	v_add_u32_e32 v22, v38, v28
	v_ashrrev_i32_e32 v23, 31, v22
	v_lshl_add_u64 v[36:37], v[4:5], 3, s[0:1]
	v_lshl_add_u64 v[38:39], v[22:23], 3, s[0:1]
	v_add_u32_e32 v22, v42, v28
	v_lshl_add_u64 v[48:49], v[40:41], 3, s[0:1]
	v_ashrrev_i32_e32 v23, 31, v22
	v_lshl_add_u64 v[40:41], v[22:23], 3, s[0:1]
	v_add_u32_e32 v22, v44, v28
	v_ashrrev_i32_e32 v23, 31, v22
	v_add_u32_e32 v20, v20, v28
	v_lshl_add_u64 v[44:45], v[22:23], 3, s[0:1]
	v_ashrrev_i32_e32 v21, 31, v20
	s_waitcnt vmcnt(5)
	v_fmac_f64_e32 v[34:35], s[8:9], v[0:1]
	v_fmac_f64_e32 v[34:35], s[4:5], v[6:7]
	v_fmac_f64_e32 v[34:35], s[10:11], v[64:65]
	s_waitcnt vmcnt(4)
	v_fmac_f64_e32 v[34:35], 0xbfa00000, v[14:15]
	s_waitcnt vmcnt(3)
	v_fmac_f64_e32 v[34:35], s[6:7], v[52:53]
	;; [unrolled: 2-line block ×4, first 2 shown]
	v_fmac_f64_e32 v[34:35], s[12:13], v[24:25]
	v_fmac_f64_e32 v[34:35], s[8:9], v[2:3]
	;; [unrolled: 1-line block ×6, first 2 shown]
	global_load_dwordx4 v[4:7], v[36:37], off
	global_load_dwordx4 v[58:61], v[32:33], off offset:8
	v_fmac_f64_e32 v[34:35], 0xbfb00000, v[62:63]
	global_load_dwordx4 v[0:3], v[38:39], off
	global_load_dwordx2 v[62:63], v[38:39], off offset:32
	v_fmac_f64_e32 v[34:35], s[14:15], v[12:13]
	v_add_u32_e32 v12, v50, v28
	global_load_dwordx4 v[8:11], v[48:49], off
	global_load_dwordx4 v[54:57], v[48:49], off offset:24
	v_ashrrev_i32_e32 v13, 31, v12
	v_add_u32_e32 v16, v46, v28
	global_load_dwordx2 v[52:53], v[40:41], off
	v_lshl_add_u64 v[42:43], v[12:13], 3, s[0:1]
	global_load_dwordx4 v[12:15], v[42:43], off
	v_ashrrev_i32_e32 v17, 31, v16
	v_fmac_f64_e32 v[34:35], s[12:13], v[26:27]
	v_lshl_add_u64 v[46:47], v[16:17], 3, s[0:1]
	s_waitcnt vmcnt(8)
	v_fmac_f64_e32 v[34:35], s[8:9], v[18:19]
	global_load_dwordx4 v[16:19], v[46:47], off
	global_load_dwordx4 v[24:27], v[44:45], off
	v_lshl_add_u64 v[50:51], v[20:21], 3, s[0:1]
	global_load_dwordx4 v[20:23], v[50:51], off
	v_add_u32_e32 v28, v30, v28
	v_mov_b32_e32 v30, s2
	v_ashrrev_i32_e32 v29, 31, v28
	v_lshl_add_u64 v[28:29], v[28:29], 3, v[30:31]
	s_waitcnt vmcnt(10)
	v_fmac_f64_e32 v[34:35], s[4:5], v[4:5]
	s_waitcnt vmcnt(8)
	v_fmac_f64_e32 v[34:35], s[10:11], v[0:1]
	;; [unrolled: 2-line block ×8, first 2 shown]
	v_fmac_f64_e32 v[34:35], s[4:5], v[6:7]
	v_fmac_f64_e32 v[34:35], s[10:11], v[2:3]
	global_load_dwordx4 v[4:7], v[36:37], off offset:16
	global_load_dwordx2 v[20:21], v[38:39], off offset:16
	v_fmac_f64_e32 v[34:35], s[6:7], v[10:11]
	v_fmac_f64_e32 v[34:35], 0x3fb00000, v[58:59]
	global_load_dwordx4 v[0:3], v[42:43], off offset:16
	v_fmac_f64_e32 v[34:35], 0x3fb00000, v[14:15]
	global_load_dwordx4 v[8:11], v[40:41], off offset:16
	global_load_dwordx4 v[12:15], v[44:45], off offset:16
	v_fmac_f64_e32 v[34:35], s[14:15], v[18:19]
	global_load_dwordx4 v[16:19], v[46:47], off offset:16
	v_fmac_f64_e32 v[34:35], s[12:13], v[26:27]
	global_load_dwordx4 v[24:27], v[50:51], off offset:16
	global_load_dwordx4 v[36:39], v[32:33], off offset:24
	global_load_dwordx2 v[48:49], v[42:43], off offset:32
	global_load_dwordx2 v[52:53], v[46:47], off offset:32
	;; [unrolled: 1-line block ×4, first 2 shown]
                                        ; kill: killed $vgpr50_vgpr51
                                        ; kill: killed $vgpr44_vgpr45
                                        ; kill: killed $vgpr46_vgpr47
                                        ; kill: killed $vgpr42_vgpr43
                                        ; kill: killed $vgpr32_vgpr33
	s_nop 0
	global_load_dwordx2 v[32:33], v[40:41], off offset:32
	global_load_dwordx2 v[30:31], v[28:29], off
	v_fmac_f64_e32 v[34:35], s[8:9], v[22:23]
	s_mov_b32 s7, 0x3f955555
	s_waitcnt vmcnt(13)
	v_fmac_f64_e32 v[34:35], s[4:5], v[4:5]
	s_waitcnt vmcnt(12)
	v_fmac_f64_e32 v[34:35], s[10:11], v[20:21]
	;; [unrolled: 2-line block ×3, first 2 shown]
	v_fmac_f64_e32 v[34:35], s[14:15], v[60:61]
	v_fmac_f64_e32 v[34:35], s[14:15], v[0:1]
	s_waitcnt vmcnt(8)
	v_fmac_f64_e32 v[34:35], 0x3fa00000, v[16:17]
	v_fmac_f64_e32 v[34:35], s[12:13], v[12:13]
	s_waitcnt vmcnt(7)
	v_fmac_f64_e32 v[34:35], s[8:9], v[24:25]
	v_fmac_f64_e32 v[34:35], s[4:5], v[6:7]
	;; [unrolled: 1-line block ×4, first 2 shown]
	s_waitcnt vmcnt(6)
	v_fmac_f64_e32 v[34:35], s[12:13], v[36:37]
	v_fmac_f64_e32 v[34:35], s[12:13], v[2:3]
	;; [unrolled: 1-line block ×7, first 2 shown]
	s_waitcnt vmcnt(1)
	v_fmac_f64_e32 v[34:35], s[8:9], v[32:33]
	v_fmac_f64_e32 v[34:35], s[8:9], v[38:39]
	;; [unrolled: 1-line block ×6, first 2 shown]
	s_waitcnt vmcnt(0)
	v_add_f64 v[0:1], v[30:31], v[34:35]
	global_store_dwordx2 v[28:29], v[0:1], off
.LBB8_2:
	s_endpgm
	.section	.rodata,"a",@progbits
	.p2align	6, 0x0
	.amdhsa_kernel _Z5grid4iPKdPd
		.amdhsa_group_segment_fixed_size 0
		.amdhsa_private_segment_fixed_size 0
		.amdhsa_kernarg_size 280
		.amdhsa_user_sgpr_count 2
		.amdhsa_user_sgpr_dispatch_ptr 0
		.amdhsa_user_sgpr_queue_ptr 0
		.amdhsa_user_sgpr_kernarg_segment_ptr 1
		.amdhsa_user_sgpr_dispatch_id 0
		.amdhsa_user_sgpr_kernarg_preload_length 0
		.amdhsa_user_sgpr_kernarg_preload_offset 0
		.amdhsa_user_sgpr_private_segment_size 0
		.amdhsa_uses_dynamic_stack 0
		.amdhsa_enable_private_segment 0
		.amdhsa_system_sgpr_workgroup_id_x 1
		.amdhsa_system_sgpr_workgroup_id_y 1
		.amdhsa_system_sgpr_workgroup_id_z 0
		.amdhsa_system_sgpr_workgroup_info 0
		.amdhsa_system_vgpr_workitem_id 1
		.amdhsa_next_free_vgpr 68
		.amdhsa_next_free_sgpr 16
		.amdhsa_accum_offset 68
		.amdhsa_reserve_vcc 1
		.amdhsa_float_round_mode_32 0
		.amdhsa_float_round_mode_16_64 0
		.amdhsa_float_denorm_mode_32 3
		.amdhsa_float_denorm_mode_16_64 3
		.amdhsa_dx10_clamp 1
		.amdhsa_ieee_mode 1
		.amdhsa_fp16_overflow 0
		.amdhsa_tg_split 0
		.amdhsa_exception_fp_ieee_invalid_op 0
		.amdhsa_exception_fp_denorm_src 0
		.amdhsa_exception_fp_ieee_div_zero 0
		.amdhsa_exception_fp_ieee_overflow 0
		.amdhsa_exception_fp_ieee_underflow 0
		.amdhsa_exception_fp_ieee_inexact 0
		.amdhsa_exception_int_div_zero 0
	.end_amdhsa_kernel
	.text
.Lfunc_end8:
	.size	_Z5grid4iPKdPd, .Lfunc_end8-_Z5grid4iPKdPd
                                        ; -- End function
	.section	.AMDGPU.csdata,"",@progbits
; Kernel info:
; codeLenInByte = 1420
; NumSgprs: 22
; NumVgprs: 68
; NumAgprs: 0
; TotalNumVgprs: 68
; ScratchSize: 0
; MemoryBound: 0
; FloatMode: 240
; IeeeMode: 1
; LDSByteSize: 0 bytes/workgroup (compile time only)
; SGPRBlocks: 2
; VGPRBlocks: 8
; NumSGPRsForWavesPerEU: 22
; NumVGPRsForWavesPerEU: 68
; AccumOffset: 68
; Occupancy: 7
; WaveLimiterHint : 0
; COMPUTE_PGM_RSRC2:SCRATCH_EN: 0
; COMPUTE_PGM_RSRC2:USER_SGPR: 2
; COMPUTE_PGM_RSRC2:TRAP_HANDLER: 0
; COMPUTE_PGM_RSRC2:TGID_X_EN: 1
; COMPUTE_PGM_RSRC2:TGID_Y_EN: 1
; COMPUTE_PGM_RSRC2:TGID_Z_EN: 0
; COMPUTE_PGM_RSRC2:TIDIG_COMP_CNT: 1
; COMPUTE_PGM_RSRC3_GFX90A:ACCUM_OFFSET: 16
; COMPUTE_PGM_RSRC3_GFX90A:TG_SPLIT: 0
	.text
	.protected	_Z5grid5iPKdPd          ; -- Begin function _Z5grid5iPKdPd
	.globl	_Z5grid5iPKdPd
	.p2align	8
	.type	_Z5grid5iPKdPd,@function
_Z5grid5iPKdPd:                         ; @_Z5grid5iPKdPd
; %bb.0:
	s_load_dword s4, s[0:1], 0x24
	s_load_dword s12, s[0:1], 0x0
	v_and_b32_e32 v1, 0x3ff, v0
	v_bfe_u32 v0, v0, 10, 10
	s_waitcnt lgkmcnt(0)
	s_lshr_b32 s5, s4, 16
	s_and_b32 s4, s4, 0xffff
	s_mul_i32 s2, s2, s4
	s_mul_i32 s3, s3, s5
	v_add_u32_e32 v16, s2, v1
	v_add_u32_e32 v24, s3, v0
	s_add_i32 s2, s12, -5
	v_max_i32_e32 v0, v16, v24
	v_cmp_gt_i32_e32 vcc, s2, v0
	v_min_i32_e32 v0, v24, v16
	v_cmp_lt_i32_e64 s[2:3], 4, v0
	s_and_b64 s[2:3], s[2:3], vcc
	s_and_saveexec_b64 s[4:5], s[2:3]
	s_cbranch_execz .LBB9_2
; %bb.1:
	s_load_dwordx4 s[0:3], s[0:1], 0x8
	v_add_u32_e32 v0, -5, v16
	v_mul_lo_u32 v30, v0, s12
	v_add_u32_e32 v38, s12, v30
	v_ashrrev_i32_e32 v25, 31, v24
	v_ashrrev_i32_e32 v39, 31, v38
	v_mul_lo_u32 v26, v16, s12
	v_ashrrev_i32_e32 v31, 31, v30
	v_lshl_add_u64 v[4:5], v[38:39], 0, v[24:25]
	v_add_u32_e32 v46, s12, v38
	v_add_u32_e32 v34, s12, v26
	v_lshl_add_u64 v[0:1], v[30:31], 0, v[24:25]
	s_waitcnt lgkmcnt(0)
	v_lshl_add_u64 v[42:43], v[4:5], 3, s[0:1]
	v_ashrrev_i32_e32 v47, 31, v46
	v_add_u32_e32 v50, s12, v46
	v_add_u32_e32 v40, s12, v34
	v_lshl_add_u64 v[36:37], v[0:1], 3, s[0:1]
	global_load_dwordx4 v[4:7], v[42:43], off offset:-40
	v_lshl_add_u64 v[8:9], v[46:47], 0, v[24:25]
	v_ashrrev_i32_e32 v51, 31, v50
	v_ashrrev_i32_e32 v27, 31, v26
	;; [unrolled: 1-line block ×3, first 2 shown]
	v_add_u32_e32 v44, s12, v40
	v_add_u32_e32 v56, s12, v50
	global_load_dwordx4 v[0:3], v[36:37], off offset:-40
	v_lshl_add_u64 v[52:53], v[8:9], 3, s[0:1]
	v_lshl_add_u64 v[12:13], v[50:51], 0, v[24:25]
	;; [unrolled: 1-line block ×4, first 2 shown]
	v_ashrrev_i32_e32 v45, 31, v44
	v_add_u32_e32 v48, s12, v44
	v_ashrrev_i32_e32 v57, 31, v56
	global_load_dwordx4 v[8:11], v[52:53], off offset:-40
	v_lshl_add_u64 v[54:55], v[12:13], 3, s[0:1]
	v_lshl_add_u64 v[32:33], v[16:17], 3, s[0:1]
	;; [unrolled: 1-line block ×4, first 2 shown]
	v_ashrrev_i32_e32 v49, 31, v48
	v_lshl_add_u64 v[18:19], v[56:57], 0, v[24:25]
	global_load_dwordx4 v[12:15], v[54:55], off offset:-40
	v_lshl_add_u64 v[66:67], v[16:17], 3, s[0:1]
	v_lshl_add_u64 v[16:17], v[48:49], 0, v[24:25]
	;; [unrolled: 1-line block ×4, first 2 shown]
	global_load_dwordx4 v[16:19], v[58:59], off offset:-40
	s_mov_b32 s6, 0x789abcdf
	s_mov_b32 s7, 0xbf523456
	v_ashrrev_i32_e32 v41, 31, v40
	s_mov_b32 s5, 0xbf847ae1
	s_mov_b32 s4, 0x47ae147b
	v_lshl_add_u64 v[20:21], v[40:41], 0, v[24:25]
	v_lshl_add_u64 v[62:63], v[20:21], 3, s[0:1]
	global_load_dwordx4 v[20:23], v[32:33], off offset:-40
	s_mov_b32 s11, 0xbf899999
	s_mov_b32 s10, 0x9999999a
	;; [unrolled: 1-line block ×15, first 2 shown]
	s_waitcnt vmcnt(5)
	v_mul_f64 v[28:29], v[4:5], s[6:7]
	s_waitcnt vmcnt(4)
	v_fmac_f64_e32 v[28:29], s[4:5], v[0:1]
	s_mov_b32 s5, 0x3f847ae1
	s_waitcnt vmcnt(3)
	v_fmac_f64_e32 v[28:29], s[6:7], v[8:9]
	s_waitcnt vmcnt(2)
	v_fmac_f64_e32 v[28:29], s[6:7], v[12:13]
	;; [unrolled: 2-line block ×3, first 2 shown]
	global_load_dwordx2 v[16:17], v[32:33], off offset:40
	global_load_dwordx4 v[68:71], v[60:61], off offset:-40
	global_load_dwordx4 v[72:75], v[62:63], off offset:-40
	;; [unrolled: 1-line block ×4, first 2 shown]
	s_waitcnt vmcnt(5)
	v_fmac_f64_e32 v[28:29], s[6:7], v[20:21]
	s_waitcnt vmcnt(3)
	v_fmac_f64_e32 v[28:29], s[6:7], v[68:69]
	global_load_dwordx2 v[0:1], v[64:65], off offset:-40
	global_load_dwordx4 v[66:69], v[64:65], off offset:-24
	s_waitcnt vmcnt(4)
	v_fmac_f64_e32 v[28:29], s[6:7], v[72:73]
	s_waitcnt vmcnt(3)
	v_fmac_f64_e32 v[28:29], s[6:7], v[76:77]
	;; [unrolled: 2-line block ×3, first 2 shown]
	v_fmac_f64_e32 v[28:29], s[6:7], v[2:3]
	v_fmac_f64_e32 v[28:29], s[10:11], v[6:7]
	;; [unrolled: 1-line block ×6, first 2 shown]
	v_add_u32_e32 v18, s12, v48
	v_fmac_f64_e32 v[28:29], s[16:17], v[70:71]
	v_ashrrev_i32_e32 v19, 31, v18
	v_fmac_f64_e32 v[28:29], s[16:17], v[74:75]
	v_lshl_add_u64 v[0:1], v[18:19], 0, v[24:25]
	global_load_dwordx2 v[74:75], v[62:63], off offset:-24
	global_load_dwordx2 v[76:77], v[62:63], off offset:-8
	v_fmac_f64_e32 v[28:29], s[16:17], v[78:79]
	v_lshl_add_u64 v[78:79], v[0:1], 3, s[0:1]
	global_load_dwordx2 v[84:85], v[64:65], off offset:-8
	global_load_dwordx4 v[0:3], v[78:79], off offset:-32
	global_load_dwordx4 v[4:7], v[36:37], off offset:-24
	;; [unrolled: 1-line block ×7, first 2 shown]
	s_mov_b32 s12, s16
	s_mov_b32 s11, 0xbf999999
	s_waitcnt vmcnt(6)
	v_fmac_f64_e32 v[28:29], s[8:9], v[0:1]
	s_waitcnt vmcnt(5)
	v_fmac_f64_e32 v[28:29], s[6:7], v[4:5]
	v_add_u32_e32 v0, v30, v24
	s_waitcnt vmcnt(3)
	v_fmac_f64_e32 v[28:29], s[16:17], v[8:9]
	s_waitcnt vmcnt(2)
	v_fmac_f64_e32 v[28:29], s[14:15], v[12:13]
	;; [unrolled: 2-line block ×4, first 2 shown]
	global_load_dwordx4 v[60:63], v[60:61], off offset:-24
	v_fmac_f64_e32 v[28:29], s[18:19], v[70:71]
	s_mov_b32 s15, 0xbf811111
	v_ashrrev_i32_e32 v1, 31, v0
	v_lshl_add_u64 v[20:21], v[0:1], 3, s[0:1]
	s_waitcnt vmcnt(0)
	v_fmac_f64_e32 v[28:29], s[18:19], v[60:61]
	v_fmac_f64_e32 v[28:29], s[18:19], v[74:75]
	;; [unrolled: 1-line block ×9, first 2 shown]
	global_load_dwordx4 v[64:67], v[78:79], off offset:-16
	global_load_dwordx2 v[4:5], v[36:37], off offset:-8
	global_load_dwordx2 v[6:7], v[42:43], off offset:-8
	;; [unrolled: 1-line block ×6, first 2 shown]
	global_load_dwordx4 v[0:3], v[20:21], off
	v_fmac_f64_e32 v[28:29], s[14:15], v[72:73]
	v_fmac_f64_e32 v[28:29], s[14:15], v[62:63]
	;; [unrolled: 1-line block ×4, first 2 shown]
	s_mov_b32 s11, 0xbfa99999
	v_add_u32_e32 v22, v56, v24
	v_ashrrev_i32_e32 v23, 31, v22
	v_lshl_add_u64 v[22:23], v[22:23], 3, s[0:1]
	s_waitcnt vmcnt(7)
	v_fmac_f64_e32 v[28:29], s[8:9], v[64:65]
	s_waitcnt vmcnt(6)
	v_fmac_f64_e32 v[28:29], s[6:7], v[4:5]
	;; [unrolled: 2-line block ×4, first 2 shown]
	v_add_u32_e32 v8, v46, v24
	v_add_u32_e32 v4, v38, v24
	v_ashrrev_i32_e32 v9, 31, v8
	v_ashrrev_i32_e32 v5, 31, v4
	v_lshl_add_u64 v[30:31], v[8:9], 3, s[0:1]
	v_add_u32_e32 v8, v50, v24
	s_waitcnt vmcnt(3)
	v_fmac_f64_e32 v[28:29], s[14:15], v[10:11]
	v_lshl_add_u64 v[36:37], v[4:5], 3, s[0:1]
	v_ashrrev_i32_e32 v9, 31, v8
	s_waitcnt vmcnt(2)
	v_fmac_f64_e32 v[28:29], s[10:11], v[12:13]
	global_load_dwordx4 v[4:7], v[36:37], off
	v_lshl_add_u64 v[38:39], v[8:9], 3, s[0:1]
	s_waitcnt vmcnt(2)
	v_fmac_f64_e32 v[28:29], s[10:11], v[14:15]
	global_load_dwordx4 v[8:11], v[38:39], off
	global_load_dwordx4 v[12:15], v[30:31], off
	global_load_dwordx2 v[42:43], v[22:23], off
	v_fmac_f64_e32 v[28:29], s[22:23], v[76:77]
	v_fmac_f64_e32 v[28:29], s[20:21], v[82:83]
	;; [unrolled: 1-line block ×4, first 2 shown]
	s_waitcnt vmcnt(4)
	v_fmac_f64_e32 v[28:29], s[6:7], v[0:1]
	global_load_dwordx2 v[0:1], v[36:37], off offset:40
	global_load_dwordx4 v[50:53], v[38:39], off offset:24
	s_waitcnt vmcnt(5)
	v_fmac_f64_e32 v[28:29], s[16:17], v[4:5]
	global_load_dwordx2 v[4:5], v[38:39], off offset:40
	s_waitcnt vmcnt(4)
	v_fmac_f64_e32 v[28:29], s[18:19], v[12:13]
	v_fmac_f64_e32 v[28:29], s[14:15], v[8:9]
	v_add_u32_e32 v8, v34, v24
	v_ashrrev_i32_e32 v9, 31, v8
	v_lshl_add_u64 v[66:67], v[8:9], 3, s[0:1]
	v_add_u32_e32 v8, v40, v24
	v_ashrrev_i32_e32 v9, 31, v8
	v_lshl_add_u64 v[68:69], v[8:9], 3, s[0:1]
	;; [unrolled: 3-line block ×3, first 2 shown]
	v_add_u32_e32 v8, v48, v24
	global_load_dwordx4 v[54:57], v[66:67], off
	global_load_dwordx4 v[38:41], v[68:69], off
	v_ashrrev_i32_e32 v9, 31, v8
	v_lshl_add_u64 v[72:73], v[8:9], 3, s[0:1]
	v_add_u32_e32 v8, v18, v24
	s_waitcnt vmcnt(5)
	v_fmac_f64_e32 v[28:29], s[10:11], v[42:43]
	global_load_dwordx4 v[42:45], v[70:71], off
	global_load_dwordx4 v[46:49], v[72:73], off
	v_ashrrev_i32_e32 v9, 31, v8
	v_lshl_add_u64 v[74:75], v[8:9], 3, s[0:1]
	global_load_dwordx4 v[58:61], v[74:75], off
	s_mov_b32 s11, 0x3fa99999
	s_waitcnt vmcnt(4)
	v_fmac_f64_e32 v[28:29], s[10:11], v[54:55]
	s_waitcnt vmcnt(3)
	v_fmac_f64_e32 v[28:29], s[22:23], v[38:39]
	;; [unrolled: 2-line block ×5, first 2 shown]
	v_fmac_f64_e32 v[28:29], s[6:7], v[2:3]
	v_fmac_f64_e32 v[28:29], s[16:17], v[6:7]
	global_load_dwordx4 v[6:9], v[32:33], off offset:8
	v_fmac_f64_e32 v[28:29], s[18:19], v[14:15]
	v_fmac_f64_e32 v[28:29], s[14:15], v[10:11]
	global_load_dwordx4 v[10:13], v[20:21], off offset:16
	s_mov_b32 s15, 0x3f911111
	v_add_u32_e32 v14, v26, v24
	v_ashrrev_i32_e32 v15, 31, v14
	s_waitcnt vmcnt(1)
	v_fmac_f64_e32 v[28:29], s[10:11], v[6:7]
	v_fmac_f64_e32 v[28:29], s[10:11], v[56:57]
	;; [unrolled: 1-line block ×3, first 2 shown]
	global_load_dwordx4 v[38:41], v[36:37], off offset:16
	global_load_dwordx2 v[2:3], v[30:31], off offset:16
	v_fmac_f64_e32 v[28:29], s[20:21], v[44:45]
	global_load_dwordx4 v[34:37], v[22:23], off offset:16
	v_fmac_f64_e32 v[28:29], s[12:13], v[48:49]
	global_load_dwordx4 v[46:49], v[30:31], off offset:32
	v_fmac_f64_e32 v[28:29], s[8:9], v[60:61]
	s_waitcnt vmcnt(4)
	v_fmac_f64_e32 v[28:29], s[6:7], v[10:11]
	global_load_dwordx4 v[42:45], v[66:67], off offset:16
	global_load_dwordx4 v[54:57], v[68:69], off offset:16
	;; [unrolled: 1-line block ×3, first 2 shown]
	s_mov_b32 s11, 0x3f999999
	global_load_dwordx4 v[58:61], v[72:73], off offset:16
	s_waitcnt vmcnt(7)
	v_fmac_f64_e32 v[28:29], s[16:17], v[38:39]
	s_waitcnt vmcnt(6)
	v_fmac_f64_e32 v[28:29], s[18:19], v[2:3]
	;; [unrolled: 2-line block ×3, first 2 shown]
	v_fmac_f64_e32 v[28:29], s[22:23], v[8:9]
	global_load_dwordx4 v[6:9], v[70:71], off offset:16
	s_waitcnt vmcnt(4)
	v_fmac_f64_e32 v[28:29], s[22:23], v[42:43]
	s_waitcnt vmcnt(3)
	v_fmac_f64_e32 v[28:29], s[10:11], v[54:55]
	s_mov_b32 s11, 0x3f899999
	s_waitcnt vmcnt(0)
	v_fmac_f64_e32 v[28:29], s[20:21], v[6:7]
	v_fmac_f64_e32 v[28:29], s[12:13], v[58:59]
	;; [unrolled: 1-line block ×7, first 2 shown]
	global_load_dwordx4 v[10:13], v[32:33], off offset:24
	global_load_dwordx2 v[2:3], v[20:21], off offset:32
	global_load_dwordx4 v[34:37], v[66:67], off offset:32
	s_nop 0
	global_load_dwordx4 v[18:21], v[22:23], off offset:32
	global_load_dwordx4 v[30:33], v[68:69], off offset:32
	s_waitcnt vmcnt(4)
	v_fmac_f64_e32 v[28:29], s[20:21], v[10:11]
	v_fmac_f64_e32 v[28:29], s[20:21], v[44:45]
	;; [unrolled: 1-line block ×3, first 2 shown]
	global_load_dwordx4 v[38:41], v[70:71], off offset:32
	global_load_dwordx4 v[42:45], v[72:73], off offset:32
	v_fmac_f64_e32 v[28:29], s[14:15], v[8:9]
	global_load_dwordx4 v[6:9], v[74:75], off offset:32
	v_mov_b32_e32 v10, s2
	v_mov_b32_e32 v11, s3
	v_lshl_add_u64 v[10:11], v[14:15], 3, v[10:11]
	global_load_dwordx2 v[14:15], v[10:11], off
	v_fmac_f64_e32 v[28:29], s[12:13], v[60:61]
	v_fmac_f64_e32 v[28:29], s[8:9], v[64:65]
	s_waitcnt vmcnt(7)
	v_fmac_f64_e32 v[28:29], s[6:7], v[2:3]
	v_fmac_f64_e32 v[28:29], s[12:13], v[46:47]
	v_fmac_f64_e32 v[28:29], s[12:13], v[52:53]
	s_waitcnt vmcnt(5)
	v_fmac_f64_e32 v[28:29], s[12:13], v[18:19]
	;; [unrolled: 4-line block ×3, first 2 shown]
	s_waitcnt vmcnt(3)
	v_fmac_f64_e32 v[28:29], s[12:13], v[38:39]
	s_waitcnt vmcnt(2)
	v_fmac_f64_e32 v[28:29], s[10:11], v[42:43]
	;; [unrolled: 2-line block ×3, first 2 shown]
	v_fmac_f64_e32 v[28:29], s[8:9], v[0:1]
	v_fmac_f64_e32 v[28:29], s[8:9], v[48:49]
	;; [unrolled: 1-line block ×10, first 2 shown]
	s_waitcnt vmcnt(0)
	v_add_f64 v[0:1], v[14:15], v[28:29]
	global_store_dwordx2 v[10:11], v[0:1], off
.LBB9_2:
	s_endpgm
	.section	.rodata,"a",@progbits
	.p2align	6, 0x0
	.amdhsa_kernel _Z5grid5iPKdPd
		.amdhsa_group_segment_fixed_size 0
		.amdhsa_private_segment_fixed_size 0
		.amdhsa_kernarg_size 280
		.amdhsa_user_sgpr_count 2
		.amdhsa_user_sgpr_dispatch_ptr 0
		.amdhsa_user_sgpr_queue_ptr 0
		.amdhsa_user_sgpr_kernarg_segment_ptr 1
		.amdhsa_user_sgpr_dispatch_id 0
		.amdhsa_user_sgpr_kernarg_preload_length 0
		.amdhsa_user_sgpr_kernarg_preload_offset 0
		.amdhsa_user_sgpr_private_segment_size 0
		.amdhsa_uses_dynamic_stack 0
		.amdhsa_enable_private_segment 0
		.amdhsa_system_sgpr_workgroup_id_x 1
		.amdhsa_system_sgpr_workgroup_id_y 1
		.amdhsa_system_sgpr_workgroup_id_z 0
		.amdhsa_system_sgpr_workgroup_info 0
		.amdhsa_system_vgpr_workitem_id 1
		.amdhsa_next_free_vgpr 86
		.amdhsa_next_free_sgpr 24
		.amdhsa_accum_offset 88
		.amdhsa_reserve_vcc 1
		.amdhsa_float_round_mode_32 0
		.amdhsa_float_round_mode_16_64 0
		.amdhsa_float_denorm_mode_32 3
		.amdhsa_float_denorm_mode_16_64 3
		.amdhsa_dx10_clamp 1
		.amdhsa_ieee_mode 1
		.amdhsa_fp16_overflow 0
		.amdhsa_tg_split 0
		.amdhsa_exception_fp_ieee_invalid_op 0
		.amdhsa_exception_fp_denorm_src 0
		.amdhsa_exception_fp_ieee_div_zero 0
		.amdhsa_exception_fp_ieee_overflow 0
		.amdhsa_exception_fp_ieee_underflow 0
		.amdhsa_exception_fp_ieee_inexact 0
		.amdhsa_exception_int_div_zero 0
	.end_amdhsa_kernel
	.text
.Lfunc_end9:
	.size	_Z5grid5iPKdPd, .Lfunc_end9-_Z5grid5iPKdPd
                                        ; -- End function
	.section	.AMDGPU.csdata,"",@progbits
; Kernel info:
; codeLenInByte = 1960
; NumSgprs: 30
; NumVgprs: 86
; NumAgprs: 0
; TotalNumVgprs: 86
; ScratchSize: 0
; MemoryBound: 0
; FloatMode: 240
; IeeeMode: 1
; LDSByteSize: 0 bytes/workgroup (compile time only)
; SGPRBlocks: 3
; VGPRBlocks: 10
; NumSGPRsForWavesPerEU: 30
; NumVGPRsForWavesPerEU: 86
; AccumOffset: 88
; Occupancy: 5
; WaveLimiterHint : 0
; COMPUTE_PGM_RSRC2:SCRATCH_EN: 0
; COMPUTE_PGM_RSRC2:USER_SGPR: 2
; COMPUTE_PGM_RSRC2:TRAP_HANDLER: 0
; COMPUTE_PGM_RSRC2:TGID_X_EN: 1
; COMPUTE_PGM_RSRC2:TGID_Y_EN: 1
; COMPUTE_PGM_RSRC2:TGID_Z_EN: 0
; COMPUTE_PGM_RSRC2:TIDIG_COMP_CNT: 1
; COMPUTE_PGM_RSRC3_GFX90A:ACCUM_OFFSET: 21
; COMPUTE_PGM_RSRC3_GFX90A:TG_SPLIT: 0
	.text
	.protected	_Z7nothingiPKdPd        ; -- Begin function _Z7nothingiPKdPd
	.globl	_Z7nothingiPKdPd
	.p2align	8
	.type	_Z7nothingiPKdPd,@function
_Z7nothingiPKdPd:                       ; @_Z7nothingiPKdPd
; %bb.0:
	s_endpgm
	.section	.rodata,"a",@progbits
	.p2align	6, 0x0
	.amdhsa_kernel _Z7nothingiPKdPd
		.amdhsa_group_segment_fixed_size 0
		.amdhsa_private_segment_fixed_size 0
		.amdhsa_kernarg_size 24
		.amdhsa_user_sgpr_count 2
		.amdhsa_user_sgpr_dispatch_ptr 0
		.amdhsa_user_sgpr_queue_ptr 0
		.amdhsa_user_sgpr_kernarg_segment_ptr 1
		.amdhsa_user_sgpr_dispatch_id 0
		.amdhsa_user_sgpr_kernarg_preload_length 0
		.amdhsa_user_sgpr_kernarg_preload_offset 0
		.amdhsa_user_sgpr_private_segment_size 0
		.amdhsa_uses_dynamic_stack 0
		.amdhsa_enable_private_segment 0
		.amdhsa_system_sgpr_workgroup_id_x 1
		.amdhsa_system_sgpr_workgroup_id_y 0
		.amdhsa_system_sgpr_workgroup_id_z 0
		.amdhsa_system_sgpr_workgroup_info 0
		.amdhsa_system_vgpr_workitem_id 0
		.amdhsa_next_free_vgpr 1
		.amdhsa_next_free_sgpr 0
		.amdhsa_accum_offset 4
		.amdhsa_reserve_vcc 0
		.amdhsa_float_round_mode_32 0
		.amdhsa_float_round_mode_16_64 0
		.amdhsa_float_denorm_mode_32 3
		.amdhsa_float_denorm_mode_16_64 3
		.amdhsa_dx10_clamp 1
		.amdhsa_ieee_mode 1
		.amdhsa_fp16_overflow 0
		.amdhsa_tg_split 0
		.amdhsa_exception_fp_ieee_invalid_op 0
		.amdhsa_exception_fp_denorm_src 0
		.amdhsa_exception_fp_ieee_div_zero 0
		.amdhsa_exception_fp_ieee_overflow 0
		.amdhsa_exception_fp_ieee_underflow 0
		.amdhsa_exception_fp_ieee_inexact 0
		.amdhsa_exception_int_div_zero 0
	.end_amdhsa_kernel
	.text
.Lfunc_end10:
	.size	_Z7nothingiPKdPd, .Lfunc_end10-_Z7nothingiPKdPd
                                        ; -- End function
	.section	.AMDGPU.csdata,"",@progbits
; Kernel info:
; codeLenInByte = 4
; NumSgprs: 6
; NumVgprs: 0
; NumAgprs: 0
; TotalNumVgprs: 0
; ScratchSize: 0
; MemoryBound: 0
; FloatMode: 240
; IeeeMode: 1
; LDSByteSize: 0 bytes/workgroup (compile time only)
; SGPRBlocks: 0
; VGPRBlocks: 0
; NumSGPRsForWavesPerEU: 6
; NumVGPRsForWavesPerEU: 1
; AccumOffset: 4
; Occupancy: 8
; WaveLimiterHint : 0
; COMPUTE_PGM_RSRC2:SCRATCH_EN: 0
; COMPUTE_PGM_RSRC2:USER_SGPR: 2
; COMPUTE_PGM_RSRC2:TRAP_HANDLER: 0
; COMPUTE_PGM_RSRC2:TGID_X_EN: 1
; COMPUTE_PGM_RSRC2:TGID_Y_EN: 0
; COMPUTE_PGM_RSRC2:TGID_Z_EN: 0
; COMPUTE_PGM_RSRC2:TIDIG_COMP_CNT: 0
; COMPUTE_PGM_RSRC3_GFX90A:ACCUM_OFFSET: 0
; COMPUTE_PGM_RSRC3_GFX90A:TG_SPLIT: 0
	.text
	.protected	_Z3addiPd               ; -- Begin function _Z3addiPd
	.globl	_Z3addiPd
	.p2align	8
	.type	_Z3addiPd,@function
_Z3addiPd:                              ; @_Z3addiPd
; %bb.0:
	s_load_dword s5, s[0:1], 0x1c
	s_load_dword s4, s[0:1], 0x0
	v_and_b32_e32 v1, 0x3ff, v0
	v_bfe_u32 v0, v0, 10, 10
	s_waitcnt lgkmcnt(0)
	s_lshr_b32 s6, s5, 16
	s_and_b32 s5, s5, 0xffff
	s_mul_i32 s2, s2, s5
	s_mul_i32 s3, s3, s6
	v_add_u32_e32 v1, s2, v1
	v_add_u32_e32 v0, s3, v0
	v_max_u32_e32 v2, v1, v0
	v_cmp_gt_u32_e32 vcc, s4, v2
	s_and_saveexec_b64 s[2:3], vcc
	s_cbranch_execz .LBB11_2
; %bb.1:
	s_load_dwordx2 s[0:1], s[0:1], 0x8
	v_mad_u64_u32 v[0:1], s[2:3], v1, s4, v[0:1]
	v_mov_b32_e32 v1, 0
	s_waitcnt lgkmcnt(0)
	v_lshl_add_u64 v[0:1], v[0:1], 3, s[0:1]
	global_load_dwordx2 v[2:3], v[0:1], off
	s_waitcnt vmcnt(0)
	v_add_f64 v[2:3], v[2:3], 1.0
	global_store_dwordx2 v[0:1], v[2:3], off
.LBB11_2:
	s_endpgm
	.section	.rodata,"a",@progbits
	.p2align	6, 0x0
	.amdhsa_kernel _Z3addiPd
		.amdhsa_group_segment_fixed_size 0
		.amdhsa_private_segment_fixed_size 0
		.amdhsa_kernarg_size 272
		.amdhsa_user_sgpr_count 2
		.amdhsa_user_sgpr_dispatch_ptr 0
		.amdhsa_user_sgpr_queue_ptr 0
		.amdhsa_user_sgpr_kernarg_segment_ptr 1
		.amdhsa_user_sgpr_dispatch_id 0
		.amdhsa_user_sgpr_kernarg_preload_length 0
		.amdhsa_user_sgpr_kernarg_preload_offset 0
		.amdhsa_user_sgpr_private_segment_size 0
		.amdhsa_uses_dynamic_stack 0
		.amdhsa_enable_private_segment 0
		.amdhsa_system_sgpr_workgroup_id_x 1
		.amdhsa_system_sgpr_workgroup_id_y 1
		.amdhsa_system_sgpr_workgroup_id_z 0
		.amdhsa_system_sgpr_workgroup_info 0
		.amdhsa_system_vgpr_workitem_id 1
		.amdhsa_next_free_vgpr 4
		.amdhsa_next_free_sgpr 7
		.amdhsa_accum_offset 4
		.amdhsa_reserve_vcc 1
		.amdhsa_float_round_mode_32 0
		.amdhsa_float_round_mode_16_64 0
		.amdhsa_float_denorm_mode_32 3
		.amdhsa_float_denorm_mode_16_64 3
		.amdhsa_dx10_clamp 1
		.amdhsa_ieee_mode 1
		.amdhsa_fp16_overflow 0
		.amdhsa_tg_split 0
		.amdhsa_exception_fp_ieee_invalid_op 0
		.amdhsa_exception_fp_denorm_src 0
		.amdhsa_exception_fp_ieee_div_zero 0
		.amdhsa_exception_fp_ieee_overflow 0
		.amdhsa_exception_fp_ieee_underflow 0
		.amdhsa_exception_fp_ieee_inexact 0
		.amdhsa_exception_int_div_zero 0
	.end_amdhsa_kernel
	.text
.Lfunc_end11:
	.size	_Z3addiPd, .Lfunc_end11-_Z3addiPd
                                        ; -- End function
	.section	.AMDGPU.csdata,"",@progbits
; Kernel info:
; codeLenInByte = 144
; NumSgprs: 13
; NumVgprs: 4
; NumAgprs: 0
; TotalNumVgprs: 4
; ScratchSize: 0
; MemoryBound: 0
; FloatMode: 240
; IeeeMode: 1
; LDSByteSize: 0 bytes/workgroup (compile time only)
; SGPRBlocks: 1
; VGPRBlocks: 0
; NumSGPRsForWavesPerEU: 13
; NumVGPRsForWavesPerEU: 4
; AccumOffset: 4
; Occupancy: 8
; WaveLimiterHint : 0
; COMPUTE_PGM_RSRC2:SCRATCH_EN: 0
; COMPUTE_PGM_RSRC2:USER_SGPR: 2
; COMPUTE_PGM_RSRC2:TRAP_HANDLER: 0
; COMPUTE_PGM_RSRC2:TGID_X_EN: 1
; COMPUTE_PGM_RSRC2:TGID_Y_EN: 1
; COMPUTE_PGM_RSRC2:TGID_Z_EN: 0
; COMPUTE_PGM_RSRC2:TIDIG_COMP_CNT: 1
; COMPUTE_PGM_RSRC3_GFX90A:ACCUM_OFFSET: 0
; COMPUTE_PGM_RSRC3_GFX90A:TG_SPLIT: 0
	.text
	.p2alignl 6, 3212836864
	.fill 256, 4, 3212836864
	.type	__hip_cuid_8f7829d28fd2fad8,@object ; @__hip_cuid_8f7829d28fd2fad8
	.section	.bss,"aw",@nobits
	.globl	__hip_cuid_8f7829d28fd2fad8
__hip_cuid_8f7829d28fd2fad8:
	.byte	0                               ; 0x0
	.size	__hip_cuid_8f7829d28fd2fad8, 1

	.ident	"AMD clang version 19.0.0git (https://github.com/RadeonOpenCompute/llvm-project roc-6.4.0 25133 c7fe45cf4b819c5991fe208aaa96edf142730f1d)"
	.section	".note.GNU-stack","",@progbits
	.addrsig
	.addrsig_sym __hip_cuid_8f7829d28fd2fad8
	.amdgpu_metadata
---
amdhsa.kernels:
  - .agpr_count:     0
    .args:
      - .offset:         0
        .size:           4
        .value_kind:     by_value
      - .address_space:  global
        .offset:         8
        .size:           8
        .value_kind:     global_buffer
      - .address_space:  global
        .offset:         16
        .size:           8
        .value_kind:     global_buffer
      - .offset:         24
        .size:           4
        .value_kind:     hidden_block_count_x
      - .offset:         28
        .size:           4
        .value_kind:     hidden_block_count_y
      - .offset:         32
        .size:           4
        .value_kind:     hidden_block_count_z
      - .offset:         36
        .size:           2
        .value_kind:     hidden_group_size_x
      - .offset:         38
        .size:           2
        .value_kind:     hidden_group_size_y
      - .offset:         40
        .size:           2
        .value_kind:     hidden_group_size_z
      - .offset:         42
        .size:           2
        .value_kind:     hidden_remainder_x
      - .offset:         44
        .size:           2
        .value_kind:     hidden_remainder_y
      - .offset:         46
        .size:           2
        .value_kind:     hidden_remainder_z
      - .offset:         64
        .size:           8
        .value_kind:     hidden_global_offset_x
      - .offset:         72
        .size:           8
        .value_kind:     hidden_global_offset_y
      - .offset:         80
        .size:           8
        .value_kind:     hidden_global_offset_z
      - .offset:         88
        .size:           2
        .value_kind:     hidden_grid_dims
    .group_segment_fixed_size: 0
    .kernarg_segment_align: 8
    .kernarg_segment_size: 280
    .language:       OpenCL C
    .language_version:
      - 2
      - 0
    .max_flat_workgroup_size: 1024
    .name:           _Z5star1iPKdPd
    .private_segment_fixed_size: 0
    .sgpr_count:     14
    .sgpr_spill_count: 0
    .symbol:         _Z5star1iPKdPd.kd
    .uniform_work_group_size: 1
    .uses_dynamic_stack: false
    .vgpr_count:     20
    .vgpr_spill_count: 0
    .wavefront_size: 64
  - .agpr_count:     0
    .args:
      - .offset:         0
        .size:           4
        .value_kind:     by_value
      - .address_space:  global
        .offset:         8
        .size:           8
        .value_kind:     global_buffer
      - .address_space:  global
        .offset:         16
        .size:           8
        .value_kind:     global_buffer
      - .offset:         24
        .size:           4
        .value_kind:     hidden_block_count_x
      - .offset:         28
        .size:           4
        .value_kind:     hidden_block_count_y
      - .offset:         32
        .size:           4
        .value_kind:     hidden_block_count_z
      - .offset:         36
        .size:           2
        .value_kind:     hidden_group_size_x
      - .offset:         38
        .size:           2
        .value_kind:     hidden_group_size_y
      - .offset:         40
        .size:           2
        .value_kind:     hidden_group_size_z
      - .offset:         42
        .size:           2
        .value_kind:     hidden_remainder_x
      - .offset:         44
        .size:           2
        .value_kind:     hidden_remainder_y
      - .offset:         46
        .size:           2
        .value_kind:     hidden_remainder_z
      - .offset:         64
        .size:           8
        .value_kind:     hidden_global_offset_x
      - .offset:         72
        .size:           8
        .value_kind:     hidden_global_offset_y
      - .offset:         80
        .size:           8
        .value_kind:     hidden_global_offset_z
      - .offset:         88
        .size:           2
        .value_kind:     hidden_grid_dims
    .group_segment_fixed_size: 0
    .kernarg_segment_align: 8
    .kernarg_segment_size: 280
    .language:       OpenCL C
    .language_version:
      - 2
      - 0
    .max_flat_workgroup_size: 1024
    .name:           _Z5star2iPKdPd
    .private_segment_fixed_size: 0
    .sgpr_count:     14
    .sgpr_spill_count: 0
    .symbol:         _Z5star2iPKdPd.kd
    .uniform_work_group_size: 1
    .uses_dynamic_stack: false
    .vgpr_count:     32
    .vgpr_spill_count: 0
    .wavefront_size: 64
  - .agpr_count:     0
    .args:
      - .offset:         0
        .size:           4
        .value_kind:     by_value
      - .address_space:  global
        .offset:         8
        .size:           8
        .value_kind:     global_buffer
      - .address_space:  global
        .offset:         16
        .size:           8
        .value_kind:     global_buffer
      - .offset:         24
        .size:           4
        .value_kind:     hidden_block_count_x
      - .offset:         28
        .size:           4
        .value_kind:     hidden_block_count_y
      - .offset:         32
        .size:           4
        .value_kind:     hidden_block_count_z
      - .offset:         36
        .size:           2
        .value_kind:     hidden_group_size_x
      - .offset:         38
        .size:           2
        .value_kind:     hidden_group_size_y
      - .offset:         40
        .size:           2
        .value_kind:     hidden_group_size_z
      - .offset:         42
        .size:           2
        .value_kind:     hidden_remainder_x
      - .offset:         44
        .size:           2
        .value_kind:     hidden_remainder_y
      - .offset:         46
        .size:           2
        .value_kind:     hidden_remainder_z
      - .offset:         64
        .size:           8
        .value_kind:     hidden_global_offset_x
      - .offset:         72
        .size:           8
        .value_kind:     hidden_global_offset_y
      - .offset:         80
        .size:           8
        .value_kind:     hidden_global_offset_z
      - .offset:         88
        .size:           2
        .value_kind:     hidden_grid_dims
    .group_segment_fixed_size: 0
    .kernarg_segment_align: 8
    .kernarg_segment_size: 280
    .language:       OpenCL C
    .language_version:
      - 2
      - 0
    .max_flat_workgroup_size: 1024
    .name:           _Z5star3iPKdPd
    .private_segment_fixed_size: 0
    .sgpr_count:     14
    .sgpr_spill_count: 0
    .symbol:         _Z5star3iPKdPd.kd
    .uniform_work_group_size: 1
    .uses_dynamic_stack: false
    .vgpr_count:     34
    .vgpr_spill_count: 0
    .wavefront_size: 64
  - .agpr_count:     0
    .args:
      - .offset:         0
        .size:           4
        .value_kind:     by_value
      - .address_space:  global
        .offset:         8
        .size:           8
        .value_kind:     global_buffer
      - .address_space:  global
        .offset:         16
        .size:           8
        .value_kind:     global_buffer
      - .offset:         24
        .size:           4
        .value_kind:     hidden_block_count_x
      - .offset:         28
        .size:           4
        .value_kind:     hidden_block_count_y
      - .offset:         32
        .size:           4
        .value_kind:     hidden_block_count_z
      - .offset:         36
        .size:           2
        .value_kind:     hidden_group_size_x
      - .offset:         38
        .size:           2
        .value_kind:     hidden_group_size_y
      - .offset:         40
        .size:           2
        .value_kind:     hidden_group_size_z
      - .offset:         42
        .size:           2
        .value_kind:     hidden_remainder_x
      - .offset:         44
        .size:           2
        .value_kind:     hidden_remainder_y
      - .offset:         46
        .size:           2
        .value_kind:     hidden_remainder_z
      - .offset:         64
        .size:           8
        .value_kind:     hidden_global_offset_x
      - .offset:         72
        .size:           8
        .value_kind:     hidden_global_offset_y
      - .offset:         80
        .size:           8
        .value_kind:     hidden_global_offset_z
      - .offset:         88
        .size:           2
        .value_kind:     hidden_grid_dims
    .group_segment_fixed_size: 0
    .kernarg_segment_align: 8
    .kernarg_segment_size: 280
    .language:       OpenCL C
    .language_version:
      - 2
      - 0
    .max_flat_workgroup_size: 1024
    .name:           _Z5star4iPKdPd
    .private_segment_fixed_size: 0
    .sgpr_count:     14
    .sgpr_spill_count: 0
    .symbol:         _Z5star4iPKdPd.kd
    .uniform_work_group_size: 1
    .uses_dynamic_stack: false
    .vgpr_count:     48
    .vgpr_spill_count: 0
    .wavefront_size: 64
  - .agpr_count:     0
    .args:
      - .offset:         0
        .size:           4
        .value_kind:     by_value
      - .address_space:  global
        .offset:         8
        .size:           8
        .value_kind:     global_buffer
      - .address_space:  global
        .offset:         16
        .size:           8
        .value_kind:     global_buffer
      - .offset:         24
        .size:           4
        .value_kind:     hidden_block_count_x
      - .offset:         28
        .size:           4
        .value_kind:     hidden_block_count_y
      - .offset:         32
        .size:           4
        .value_kind:     hidden_block_count_z
      - .offset:         36
        .size:           2
        .value_kind:     hidden_group_size_x
      - .offset:         38
        .size:           2
        .value_kind:     hidden_group_size_y
      - .offset:         40
        .size:           2
        .value_kind:     hidden_group_size_z
      - .offset:         42
        .size:           2
        .value_kind:     hidden_remainder_x
      - .offset:         44
        .size:           2
        .value_kind:     hidden_remainder_y
      - .offset:         46
        .size:           2
        .value_kind:     hidden_remainder_z
      - .offset:         64
        .size:           8
        .value_kind:     hidden_global_offset_x
      - .offset:         72
        .size:           8
        .value_kind:     hidden_global_offset_y
      - .offset:         80
        .size:           8
        .value_kind:     hidden_global_offset_z
      - .offset:         88
        .size:           2
        .value_kind:     hidden_grid_dims
    .group_segment_fixed_size: 0
    .kernarg_segment_align: 8
    .kernarg_segment_size: 280
    .language:       OpenCL C
    .language_version:
      - 2
      - 0
    .max_flat_workgroup_size: 1024
    .name:           _Z5star5iPKdPd
    .private_segment_fixed_size: 0
    .sgpr_count:     20
    .sgpr_spill_count: 0
    .symbol:         _Z5star5iPKdPd.kd
    .uniform_work_group_size: 1
    .uses_dynamic_stack: false
    .vgpr_count:     48
    .vgpr_spill_count: 0
    .wavefront_size: 64
  - .agpr_count:     0
    .args:
      - .offset:         0
        .size:           4
        .value_kind:     by_value
      - .address_space:  global
        .offset:         8
        .size:           8
        .value_kind:     global_buffer
      - .address_space:  global
        .offset:         16
        .size:           8
        .value_kind:     global_buffer
      - .offset:         24
        .size:           4
        .value_kind:     hidden_block_count_x
      - .offset:         28
        .size:           4
        .value_kind:     hidden_block_count_y
      - .offset:         32
        .size:           4
        .value_kind:     hidden_block_count_z
      - .offset:         36
        .size:           2
        .value_kind:     hidden_group_size_x
      - .offset:         38
        .size:           2
        .value_kind:     hidden_group_size_y
      - .offset:         40
        .size:           2
        .value_kind:     hidden_group_size_z
      - .offset:         42
        .size:           2
        .value_kind:     hidden_remainder_x
      - .offset:         44
        .size:           2
        .value_kind:     hidden_remainder_y
      - .offset:         46
        .size:           2
        .value_kind:     hidden_remainder_z
      - .offset:         64
        .size:           8
        .value_kind:     hidden_global_offset_x
      - .offset:         72
        .size:           8
        .value_kind:     hidden_global_offset_y
      - .offset:         80
        .size:           8
        .value_kind:     hidden_global_offset_z
      - .offset:         88
        .size:           2
        .value_kind:     hidden_grid_dims
    .group_segment_fixed_size: 0
    .kernarg_segment_align: 8
    .kernarg_segment_size: 280
    .language:       OpenCL C
    .language_version:
      - 2
      - 0
    .max_flat_workgroup_size: 1024
    .name:           _Z5grid1iPKdPd
    .private_segment_fixed_size: 0
    .sgpr_count:     14
    .sgpr_spill_count: 0
    .symbol:         _Z5grid1iPKdPd.kd
    .uniform_work_group_size: 1
    .uses_dynamic_stack: false
    .vgpr_count:     22
    .vgpr_spill_count: 0
    .wavefront_size: 64
  - .agpr_count:     0
    .args:
      - .offset:         0
        .size:           4
        .value_kind:     by_value
      - .address_space:  global
        .offset:         8
        .size:           8
        .value_kind:     global_buffer
      - .address_space:  global
        .offset:         16
        .size:           8
        .value_kind:     global_buffer
      - .offset:         24
        .size:           4
        .value_kind:     hidden_block_count_x
      - .offset:         28
        .size:           4
        .value_kind:     hidden_block_count_y
      - .offset:         32
        .size:           4
        .value_kind:     hidden_block_count_z
      - .offset:         36
        .size:           2
        .value_kind:     hidden_group_size_x
      - .offset:         38
        .size:           2
        .value_kind:     hidden_group_size_y
      - .offset:         40
        .size:           2
        .value_kind:     hidden_group_size_z
      - .offset:         42
        .size:           2
        .value_kind:     hidden_remainder_x
      - .offset:         44
        .size:           2
        .value_kind:     hidden_remainder_y
      - .offset:         46
        .size:           2
        .value_kind:     hidden_remainder_z
      - .offset:         64
        .size:           8
        .value_kind:     hidden_global_offset_x
      - .offset:         72
        .size:           8
        .value_kind:     hidden_global_offset_y
      - .offset:         80
        .size:           8
        .value_kind:     hidden_global_offset_z
      - .offset:         88
        .size:           2
        .value_kind:     hidden_grid_dims
    .group_segment_fixed_size: 0
    .kernarg_segment_align: 8
    .kernarg_segment_size: 280
    .language:       OpenCL C
    .language_version:
      - 2
      - 0
    .max_flat_workgroup_size: 1024
    .name:           _Z5grid2iPKdPd
    .private_segment_fixed_size: 0
    .sgpr_count:     14
    .sgpr_spill_count: 0
    .symbol:         _Z5grid2iPKdPd.kd
    .uniform_work_group_size: 1
    .uses_dynamic_stack: false
    .vgpr_count:     50
    .vgpr_spill_count: 0
    .wavefront_size: 64
  - .agpr_count:     0
    .args:
      - .offset:         0
        .size:           4
        .value_kind:     by_value
      - .address_space:  global
        .offset:         8
        .size:           8
        .value_kind:     global_buffer
      - .address_space:  global
        .offset:         16
        .size:           8
        .value_kind:     global_buffer
      - .offset:         24
        .size:           4
        .value_kind:     hidden_block_count_x
      - .offset:         28
        .size:           4
        .value_kind:     hidden_block_count_y
      - .offset:         32
        .size:           4
        .value_kind:     hidden_block_count_z
      - .offset:         36
        .size:           2
        .value_kind:     hidden_group_size_x
      - .offset:         38
        .size:           2
        .value_kind:     hidden_group_size_y
      - .offset:         40
        .size:           2
        .value_kind:     hidden_group_size_z
      - .offset:         42
        .size:           2
        .value_kind:     hidden_remainder_x
      - .offset:         44
        .size:           2
        .value_kind:     hidden_remainder_y
      - .offset:         46
        .size:           2
        .value_kind:     hidden_remainder_z
      - .offset:         64
        .size:           8
        .value_kind:     hidden_global_offset_x
      - .offset:         72
        .size:           8
        .value_kind:     hidden_global_offset_y
      - .offset:         80
        .size:           8
        .value_kind:     hidden_global_offset_z
      - .offset:         88
        .size:           2
        .value_kind:     hidden_grid_dims
    .group_segment_fixed_size: 0
    .kernarg_segment_align: 8
    .kernarg_segment_size: 280
    .language:       OpenCL C
    .language_version:
      - 2
      - 0
    .max_flat_workgroup_size: 1024
    .name:           _Z5grid3iPKdPd
    .private_segment_fixed_size: 0
    .sgpr_count:     16
    .sgpr_spill_count: 0
    .symbol:         _Z5grid3iPKdPd.kd
    .uniform_work_group_size: 1
    .uses_dynamic_stack: false
    .vgpr_count:     68
    .vgpr_spill_count: 0
    .wavefront_size: 64
  - .agpr_count:     0
    .args:
      - .offset:         0
        .size:           4
        .value_kind:     by_value
      - .address_space:  global
        .offset:         8
        .size:           8
        .value_kind:     global_buffer
      - .address_space:  global
        .offset:         16
        .size:           8
        .value_kind:     global_buffer
      - .offset:         24
        .size:           4
        .value_kind:     hidden_block_count_x
      - .offset:         28
        .size:           4
        .value_kind:     hidden_block_count_y
      - .offset:         32
        .size:           4
        .value_kind:     hidden_block_count_z
      - .offset:         36
        .size:           2
        .value_kind:     hidden_group_size_x
      - .offset:         38
        .size:           2
        .value_kind:     hidden_group_size_y
      - .offset:         40
        .size:           2
        .value_kind:     hidden_group_size_z
      - .offset:         42
        .size:           2
        .value_kind:     hidden_remainder_x
      - .offset:         44
        .size:           2
        .value_kind:     hidden_remainder_y
      - .offset:         46
        .size:           2
        .value_kind:     hidden_remainder_z
      - .offset:         64
        .size:           8
        .value_kind:     hidden_global_offset_x
      - .offset:         72
        .size:           8
        .value_kind:     hidden_global_offset_y
      - .offset:         80
        .size:           8
        .value_kind:     hidden_global_offset_z
      - .offset:         88
        .size:           2
        .value_kind:     hidden_grid_dims
    .group_segment_fixed_size: 0
    .kernarg_segment_align: 8
    .kernarg_segment_size: 280
    .language:       OpenCL C
    .language_version:
      - 2
      - 0
    .max_flat_workgroup_size: 1024
    .name:           _Z5grid4iPKdPd
    .private_segment_fixed_size: 0
    .sgpr_count:     22
    .sgpr_spill_count: 0
    .symbol:         _Z5grid4iPKdPd.kd
    .uniform_work_group_size: 1
    .uses_dynamic_stack: false
    .vgpr_count:     68
    .vgpr_spill_count: 0
    .wavefront_size: 64
  - .agpr_count:     0
    .args:
      - .offset:         0
        .size:           4
        .value_kind:     by_value
      - .address_space:  global
        .offset:         8
        .size:           8
        .value_kind:     global_buffer
      - .address_space:  global
        .offset:         16
        .size:           8
        .value_kind:     global_buffer
      - .offset:         24
        .size:           4
        .value_kind:     hidden_block_count_x
      - .offset:         28
        .size:           4
        .value_kind:     hidden_block_count_y
      - .offset:         32
        .size:           4
        .value_kind:     hidden_block_count_z
      - .offset:         36
        .size:           2
        .value_kind:     hidden_group_size_x
      - .offset:         38
        .size:           2
        .value_kind:     hidden_group_size_y
      - .offset:         40
        .size:           2
        .value_kind:     hidden_group_size_z
      - .offset:         42
        .size:           2
        .value_kind:     hidden_remainder_x
      - .offset:         44
        .size:           2
        .value_kind:     hidden_remainder_y
      - .offset:         46
        .size:           2
        .value_kind:     hidden_remainder_z
      - .offset:         64
        .size:           8
        .value_kind:     hidden_global_offset_x
      - .offset:         72
        .size:           8
        .value_kind:     hidden_global_offset_y
      - .offset:         80
        .size:           8
        .value_kind:     hidden_global_offset_z
      - .offset:         88
        .size:           2
        .value_kind:     hidden_grid_dims
    .group_segment_fixed_size: 0
    .kernarg_segment_align: 8
    .kernarg_segment_size: 280
    .language:       OpenCL C
    .language_version:
      - 2
      - 0
    .max_flat_workgroup_size: 1024
    .name:           _Z5grid5iPKdPd
    .private_segment_fixed_size: 0
    .sgpr_count:     30
    .sgpr_spill_count: 0
    .symbol:         _Z5grid5iPKdPd.kd
    .uniform_work_group_size: 1
    .uses_dynamic_stack: false
    .vgpr_count:     86
    .vgpr_spill_count: 0
    .wavefront_size: 64
  - .agpr_count:     0
    .args:
      - .offset:         0
        .size:           4
        .value_kind:     by_value
      - .address_space:  global
        .offset:         8
        .size:           8
        .value_kind:     global_buffer
      - .address_space:  global
        .offset:         16
        .size:           8
        .value_kind:     global_buffer
    .group_segment_fixed_size: 0
    .kernarg_segment_align: 8
    .kernarg_segment_size: 24
    .language:       OpenCL C
    .language_version:
      - 2
      - 0
    .max_flat_workgroup_size: 1024
    .name:           _Z7nothingiPKdPd
    .private_segment_fixed_size: 0
    .sgpr_count:     6
    .sgpr_spill_count: 0
    .symbol:         _Z7nothingiPKdPd.kd
    .uniform_work_group_size: 1
    .uses_dynamic_stack: false
    .vgpr_count:     0
    .vgpr_spill_count: 0
    .wavefront_size: 64
  - .agpr_count:     0
    .args:
      - .offset:         0
        .size:           4
        .value_kind:     by_value
      - .address_space:  global
        .offset:         8
        .size:           8
        .value_kind:     global_buffer
      - .offset:         16
        .size:           4
        .value_kind:     hidden_block_count_x
      - .offset:         20
        .size:           4
        .value_kind:     hidden_block_count_y
      - .offset:         24
        .size:           4
        .value_kind:     hidden_block_count_z
      - .offset:         28
        .size:           2
        .value_kind:     hidden_group_size_x
      - .offset:         30
        .size:           2
        .value_kind:     hidden_group_size_y
      - .offset:         32
        .size:           2
        .value_kind:     hidden_group_size_z
      - .offset:         34
        .size:           2
        .value_kind:     hidden_remainder_x
      - .offset:         36
        .size:           2
        .value_kind:     hidden_remainder_y
      - .offset:         38
        .size:           2
        .value_kind:     hidden_remainder_z
      - .offset:         56
        .size:           8
        .value_kind:     hidden_global_offset_x
      - .offset:         64
        .size:           8
        .value_kind:     hidden_global_offset_y
      - .offset:         72
        .size:           8
        .value_kind:     hidden_global_offset_z
      - .offset:         80
        .size:           2
        .value_kind:     hidden_grid_dims
    .group_segment_fixed_size: 0
    .kernarg_segment_align: 8
    .kernarg_segment_size: 272
    .language:       OpenCL C
    .language_version:
      - 2
      - 0
    .max_flat_workgroup_size: 1024
    .name:           _Z3addiPd
    .private_segment_fixed_size: 0
    .sgpr_count:     13
    .sgpr_spill_count: 0
    .symbol:         _Z3addiPd.kd
    .uniform_work_group_size: 1
    .uses_dynamic_stack: false
    .vgpr_count:     4
    .vgpr_spill_count: 0
    .wavefront_size: 64
amdhsa.target:   amdgcn-amd-amdhsa--gfx942
amdhsa.version:
  - 1
  - 2
...

	.end_amdgpu_metadata
